;; amdgpu-corpus repo=ROCm/rocFFT kind=compiled arch=gfx950 opt=O3
	.text
	.amdgcn_target "amdgcn-amd-amdhsa--gfx950"
	.amdhsa_code_object_version 6
	.protected	bluestein_single_back_len455_dim1_sp_op_CI_CI ; -- Begin function bluestein_single_back_len455_dim1_sp_op_CI_CI
	.globl	bluestein_single_back_len455_dim1_sp_op_CI_CI
	.p2align	8
	.type	bluestein_single_back_len455_dim1_sp_op_CI_CI,@function
bluestein_single_back_len455_dim1_sp_op_CI_CI: ; @bluestein_single_back_len455_dim1_sp_op_CI_CI
; %bb.0:
	s_load_dwordx4 s[8:11], s[0:1], 0x28
	v_mul_u32_u24_e32 v1, 0x3f1, v0
	v_lshrrev_b32_e32 v2, 16, v1
	v_mad_u64_u32 v[60:61], s[2:3], s2, 3, v[2:3]
	v_mov_b32_e32 v61, 0
	s_waitcnt lgkmcnt(0)
	v_cmp_gt_u64_e32 vcc, s[8:9], v[60:61]
	s_and_saveexec_b64 s[2:3], vcc
	s_cbranch_execz .LBB0_23
; %bb.1:
	v_mul_lo_u16_e32 v1, 0x41, v2
	s_mov_b32 s4, 0xaaaaaaab
	v_sub_u16_e32 v140, v0, v1
	v_mul_hi_u32 v0, v60, s4
	s_load_dwordx2 s[2:3], s[0:1], 0x0
	s_load_dwordx2 s[8:9], s[0:1], 0x38
	v_lshrrev_b32_e32 v0, 1, v0
	v_lshl_add_u32 v0, v0, 1, v0
	v_sub_u32_e32 v0, v60, v0
	v_mul_u32_u24_e32 v142, 0x1c7, v0
	v_cmp_gt_u16_e32 vcc, 35, v140
	v_lshlrev_b32_e32 v61, 3, v140
	v_lshlrev_b32_e32 v141, 3, v142
	s_and_saveexec_b64 s[12:13], vcc
	s_cbranch_execz .LBB0_3
; %bb.2:
	s_load_dwordx2 s[4:5], s[0:1], 0x18
	v_mov_b32_e32 v0, s10
	v_mov_b32_e32 v1, s11
	;; [unrolled: 1-line block ×3, first 2 shown]
	v_lshl_add_u32 v54, v140, 3, v141
	s_waitcnt lgkmcnt(0)
	s_load_dwordx4 s[4:7], s[4:5], 0x0
	v_add_u32_e32 v55, v141, v61
	s_waitcnt lgkmcnt(0)
	v_mad_u64_u32 v[2:3], s[10:11], s6, v60, 0
	v_mad_u64_u32 v[4:5], s[10:11], s4, v140, 0
	v_mov_b32_e32 v6, v3
	v_mov_b32_e32 v8, v5
	v_mad_u64_u32 v[6:7], s[6:7], s7, v60, v[6:7]
	v_mov_b32_e32 v3, v6
	v_mad_u64_u32 v[6:7], s[6:7], s5, v140, v[8:9]
	v_mov_b32_e32 v5, v6
	v_lshl_add_u64 v[0:1], v[2:3], 3, v[0:1]
	v_lshl_add_u64 v[0:1], v[4:5], 3, v[0:1]
	global_load_dwordx2 v[2:3], v[0:1], off
	global_load_dwordx2 v[4:5], v61, s[2:3]
	v_mad_u64_u32 v[0:1], s[6:7], s4, v50, v[0:1]
	s_mul_i32 s10, s5, 0x118
	v_add_u32_e32 v1, s10, v1
	v_mad_u64_u32 v[6:7], s[6:7], s4, v50, v[0:1]
	v_add_u32_e32 v7, s10, v7
	global_load_dwordx2 v[8:9], v[0:1], off
	global_load_dwordx2 v[10:11], v[6:7], off
	global_load_dwordx2 v[12:13], v61, s[2:3] offset:280
	v_mad_u64_u32 v[0:1], s[6:7], s4, v50, v[6:7]
	v_add_u32_e32 v1, s10, v1
	v_mad_u64_u32 v[16:17], s[6:7], s4, v50, v[0:1]
	v_add_u32_e32 v17, s10, v17
	global_load_dwordx2 v[6:7], v61, s[2:3] offset:560
	global_load_dwordx2 v[14:15], v61, s[2:3] offset:840
	global_load_dwordx2 v[18:19], v[0:1], off
	global_load_dwordx2 v[20:21], v[16:17], off
	v_mad_u64_u32 v[0:1], s[6:7], s4, v50, v[16:17]
	v_add_u32_e32 v1, s10, v1
	global_load_dwordx2 v[22:23], v[0:1], off
	v_mad_u64_u32 v[0:1], s[6:7], s4, v50, v[0:1]
	v_add_u32_e32 v1, s10, v1
	global_load_dwordx2 v[16:17], v61, s[2:3] offset:1120
	global_load_dwordx2 v[24:25], v61, s[2:3] offset:1400
	global_load_dwordx2 v[26:27], v[0:1], off
	global_load_dwordx2 v[28:29], v61, s[2:3] offset:1680
	v_mad_u64_u32 v[0:1], s[6:7], s4, v50, v[0:1]
	v_add_u32_e32 v1, s10, v1
	global_load_dwordx2 v[30:31], v[0:1], off
	global_load_dwordx2 v[32:33], v61, s[2:3] offset:1960
	v_mad_u64_u32 v[0:1], s[6:7], s4, v50, v[0:1]
	v_add_u32_e32 v1, s10, v1
	;; [unrolled: 4-line block ×6, first 2 shown]
	global_load_dwordx2 v[50:51], v61, s[2:3] offset:3360
	global_load_dwordx2 v[52:53], v[0:1], off
	s_waitcnt vmcnt(24)
	v_mul_f32_e32 v1, v2, v5
	v_mul_f32_e32 v0, v3, v5
	v_fma_f32 v1, v3, v4, -v1
	v_fmac_f32_e32 v0, v2, v4
	ds_write_b64 v54, v[0:1]
	v_add_u32_e32 v4, 0x400, v55
	s_waitcnt vmcnt(21)
	v_mul_f32_e32 v0, v9, v13
	v_mul_f32_e32 v1, v8, v13
	v_fmac_f32_e32 v0, v8, v12
	v_fma_f32 v1, v9, v12, -v1
	s_waitcnt vmcnt(20)
	v_mul_f32_e32 v2, v11, v7
	v_mul_f32_e32 v3, v10, v7
	v_fmac_f32_e32 v2, v10, v6
	v_fma_f32 v3, v11, v6, -v3
	ds_write2_b64 v55, v[0:1], v[2:3] offset0:35 offset1:70
	s_waitcnt vmcnt(18)
	v_mul_f32_e32 v0, v19, v15
	v_mul_f32_e32 v1, v18, v15
	v_fmac_f32_e32 v0, v18, v14
	v_fma_f32 v1, v19, v14, -v1
	s_waitcnt vmcnt(15)
	v_mul_f32_e32 v2, v21, v17
	v_mul_f32_e32 v3, v20, v17
	v_fmac_f32_e32 v2, v20, v16
	v_fma_f32 v3, v21, v16, -v3
	ds_write2_b64 v55, v[0:1], v[2:3] offset0:105 offset1:140
	s_waitcnt vmcnt(14)
	v_mul_f32_e32 v0, v23, v25
	v_mul_f32_e32 v1, v22, v25
	s_waitcnt vmcnt(12)
	v_mul_f32_e32 v2, v27, v29
	v_mul_f32_e32 v3, v26, v29
	v_fmac_f32_e32 v0, v22, v24
	v_fma_f32 v1, v23, v24, -v1
	v_fmac_f32_e32 v2, v26, v28
	v_fma_f32 v3, v27, v28, -v3
	ds_write2_b64 v55, v[0:1], v[2:3] offset0:175 offset1:210
	s_waitcnt vmcnt(10)
	v_mul_f32_e32 v0, v31, v33
	v_mul_f32_e32 v1, v30, v33
	s_waitcnt vmcnt(8)
	v_mul_f32_e32 v2, v35, v37
	v_mul_f32_e32 v3, v34, v37
	v_fmac_f32_e32 v0, v30, v32
	v_fma_f32 v1, v31, v32, -v1
	;; [unrolled: 11-line block ×3, first 2 shown]
	v_fmac_f32_e32 v2, v42, v44
	v_fma_f32 v3, v43, v44, -v3
	v_add_u32_e32 v4, 0x800, v55
	ds_write2_b64 v4, v[0:1], v[2:3] offset0:59 offset1:94
	s_waitcnt vmcnt(2)
	v_mul_f32_e32 v0, v47, v49
	v_mul_f32_e32 v1, v46, v49
	s_waitcnt vmcnt(0)
	v_mul_f32_e32 v2, v53, v51
	v_mul_f32_e32 v3, v52, v51
	v_fmac_f32_e32 v0, v46, v48
	v_fma_f32 v1, v47, v48, -v1
	v_fmac_f32_e32 v2, v52, v50
	v_fma_f32 v3, v53, v50, -v3
	ds_write2_b64 v4, v[0:1], v[2:3] offset0:129 offset1:164
.LBB0_3:
	s_or_b64 exec, exec, s[12:13]
	v_mov_b64_e32 v[0:1], 0
	s_waitcnt lgkmcnt(0)
	s_barrier
	s_waitcnt lgkmcnt(0)
                                        ; implicit-def: $vgpr6
                                        ; implicit-def: $vgpr12
                                        ; implicit-def: $vgpr10
                                        ; implicit-def: $vgpr20
                                        ; implicit-def: $vgpr18
                                        ; implicit-def: $vgpr26
	s_and_saveexec_b64 s[4:5], vcc
	s_cbranch_execz .LBB0_5
; %bb.4:
	v_lshl_add_u32 v24, v142, 3, v61
	ds_read2_b64 v[0:3], v24 offset1:35
	ds_read2_b64 v[16:19], v24 offset0:70 offset1:105
	ds_read2_b64 v[8:11], v24 offset0:140 offset1:175
	;; [unrolled: 1-line block ×3, first 2 shown]
	v_add_u32_e32 v20, 0x800, v24
	ds_read2_b64 v[12:15], v20 offset0:24 offset1:59
	ds_read2_b64 v[20:23], v20 offset0:94 offset1:129
	ds_read_b64 v[26:27], v24 offset:3360
.LBB0_5:
	s_or_b64 exec, exec, s[4:5]
	s_waitcnt lgkmcnt(0)
	v_pk_add_f32 v[76:77], v[2:3], v[26:27] neg_lo:[0,1] neg_hi:[0,1]
	s_mov_b32 s6, 0xbeedf032
	v_pk_add_f32 v[30:31], v[26:27], v[2:3]
	v_pk_add_f32 v[112:113], v[16:17], v[22:23] neg_lo:[0,1] neg_hi:[0,1]
	s_mov_b32 s12, 0x3f62ad3f
	v_pk_mul_f32 v[28:29], v[76:77], s[6:7] op_sel_hi:[1,0]
	s_mov_b32 s22, 0xbf52af12
	v_pk_add_f32 v[82:83], v[22:23], v[16:17]
	v_pk_fma_f32 v[48:49], v[30:31], s[12:13], v[28:29] op_sel:[0,0,1] op_sel_hi:[1,0,0]
	v_pk_fma_f32 v[50:51], v[30:31], s[12:13], v[28:29] op_sel:[0,0,1] op_sel_hi:[1,0,0] neg_lo:[0,0,1] neg_hi:[0,0,1]
	s_mov_b32 s14, 0x3f116cb1
	v_pk_mul_f32 v[34:35], v[112:113], s[22:23] op_sel:[1,0] op_sel_hi:[0,0]
	v_mov_b32_e32 v28, v48
	v_mov_b32_e32 v29, v51
	v_pk_fma_f32 v[56:57], v[82:83], s[14:15], v[34:35] op_sel_hi:[1,0,1]
	v_pk_fma_f32 v[58:59], v[82:83], s[14:15], v[34:35] op_sel_hi:[1,0,1] neg_lo:[0,0,1] neg_hi:[0,0,1]
	v_pk_add_f32 v[28:29], v[28:29], v[0:1]
	v_pk_mul_f32 v[32:33], v[76:77], s[22:23] op_sel_hi:[1,0]
	v_mov_b32_e32 v34, v56
	v_mov_b32_e32 v35, v59
	s_mov_b32 s18, 0xbf6f5d39
	v_pk_fma_f32 v[38:39], v[30:31], s[14:15], v[32:33] op_sel:[0,0,1] op_sel_hi:[1,0,0]
	v_pk_fma_f32 v[40:41], v[30:31], s[14:15], v[32:33] op_sel:[0,0,1] op_sel_hi:[1,0,0] neg_lo:[0,0,1] neg_hi:[0,0,1]
	v_pk_add_f32 v[28:29], v[34:35], v[28:29]
	s_mov_b32 s16, 0xbeb58ec6
	v_pk_mul_f32 v[34:35], v[112:113], s[18:19] op_sel:[1,0] op_sel_hi:[0,0]
	s_mov_b32 s26, 0xbf7e222b
	v_mov_b32_e32 v32, v38
	v_mov_b32_e32 v33, v41
	v_pk_fma_f32 v[52:53], v[82:83], s[16:17], v[34:35] op_sel_hi:[1,0,1]
	v_pk_fma_f32 v[54:55], v[82:83], s[16:17], v[34:35] op_sel_hi:[1,0,1] neg_lo:[0,0,1] neg_hi:[0,0,1]
	s_mov_b32 s4, 0x3df6dbef
	v_pk_mul_f32 v[24:25], v[76:77], s[26:27] op_sel_hi:[1,0]
	v_pk_add_f32 v[32:33], v[32:33], v[0:1]
	v_mov_b32_e32 v34, v52
	v_mov_b32_e32 v35, v55
	s_mov_b32 s10, 0xbe750f2a
	v_pk_add_f32 v[32:33], v[34:35], v[32:33]
	v_pk_fma_f32 v[70:71], v[30:31], s[4:5], v[24:25] op_sel:[0,0,1] op_sel_hi:[1,0,0]
	v_pk_fma_f32 v[42:43], v[30:31], s[4:5], v[24:25] op_sel:[0,0,1] op_sel_hi:[1,0,0] neg_lo:[0,0,1] neg_hi:[0,0,1]
	s_mov_b32 s6, 0xbf788fa5
	v_pk_mul_f32 v[34:35], v[112:113], s[10:11] op_sel:[1,0] op_sel_hi:[0,0]
	v_mov_b32_e32 v24, v70
	v_mov_b32_e32 v25, v43
	v_pk_fma_f32 v[44:45], v[82:83], s[6:7], v[34:35] op_sel_hi:[1,0,1]
	v_pk_fma_f32 v[46:47], v[82:83], s[6:7], v[34:35] op_sel_hi:[1,0,1] neg_lo:[0,0,1] neg_hi:[0,0,1]
	v_pk_add_f32 v[24:25], v[24:25], v[0:1]
	v_mov_b32_e32 v34, v44
	v_mov_b32_e32 v35, v47
	v_pk_add_f32 v[144:145], v[18:19], v[20:21] neg_lo:[0,1] neg_hi:[0,1]
	v_pk_add_f32 v[24:25], v[34:35], v[24:25]
	v_pk_add_f32 v[138:139], v[20:21], v[18:19]
	v_pk_mul_f32 v[34:35], v[144:145], s[26:27] op_sel:[1,0] op_sel_hi:[0,0]
	v_pk_fma_f32 v[78:79], v[138:139], s[4:5], v[34:35] op_sel_hi:[1,0,1]
	v_pk_fma_f32 v[80:81], v[138:139], s[4:5], v[34:35] op_sel_hi:[1,0,1] neg_lo:[0,0,1] neg_hi:[0,0,1]
	v_mov_b32_e32 v34, v78
	v_mov_b32_e32 v35, v81
	v_pk_add_f32 v[28:29], v[34:35], v[28:29]
	v_pk_mul_f32 v[34:35], v[144:145], s[10:11] op_sel:[1,0] op_sel_hi:[0,0]
	v_pk_fma_f32 v[66:67], v[138:139], s[6:7], v[34:35] op_sel_hi:[1,0,1]
	v_pk_fma_f32 v[68:69], v[138:139], s[6:7], v[34:35] op_sel_hi:[1,0,1] neg_lo:[0,0,1] neg_hi:[0,0,1]
	v_mov_b32_e32 v34, v66
	v_mov_b32_e32 v35, v69
	s_mov_b32 s20, 0x3f6f5d39
	v_pk_add_f32 v[32:33], v[34:35], v[32:33]
	v_pk_mul_f32 v[34:35], v[144:145], s[20:21] op_sel:[1,0] op_sel_hi:[0,0]
	v_pk_fma_f32 v[62:63], v[138:139], s[16:17], v[34:35] op_sel_hi:[1,0,1]
	v_pk_fma_f32 v[64:65], v[138:139], s[16:17], v[34:35] op_sel_hi:[1,0,1] neg_lo:[0,0,1] neg_hi:[0,0,1]
	v_mov_b32_e32 v34, v62
	v_mov_b32_e32 v35, v65
	v_pk_add_f32 v[148:149], v[8:9], v[14:15] neg_lo:[0,1] neg_hi:[0,1]
	v_pk_add_f32 v[24:25], v[34:35], v[24:25]
	v_pk_add_f32 v[146:147], v[14:15], v[8:9]
	v_pk_mul_f32 v[34:35], v[148:149], s[18:19] op_sel:[1,0] op_sel_hi:[0,0]
	v_pk_fma_f32 v[92:93], v[146:147], s[16:17], v[34:35] op_sel_hi:[1,0,1]
	v_pk_fma_f32 v[94:95], v[146:147], s[16:17], v[34:35] op_sel_hi:[1,0,1] neg_lo:[0,0,1] neg_hi:[0,0,1]
	v_mov_b32_e32 v34, v92
	v_mov_b32_e32 v35, v95
	s_mov_b32 s34, 0x3f29c268
	v_pk_add_f32 v[28:29], v[34:35], v[28:29]
	s_mov_b32 s24, 0xbf3f9e67
	v_pk_mul_f32 v[34:35], v[148:149], s[34:35] op_sel:[1,0] op_sel_hi:[0,0]
	v_pk_fma_f32 v[84:85], v[146:147], s[24:25], v[34:35] op_sel_hi:[1,0,1]
	v_pk_fma_f32 v[86:87], v[146:147], s[24:25], v[34:35] op_sel_hi:[1,0,1] neg_lo:[0,0,1] neg_hi:[0,0,1]
	v_mov_b32_e32 v34, v84
	v_mov_b32_e32 v35, v87
	s_mov_b32 s28, 0x3eedf032
	v_pk_add_f32 v[32:33], v[34:35], v[32:33]
	v_pk_mul_f32 v[34:35], v[148:149], s[28:29] op_sel:[1,0] op_sel_hi:[0,0]
	v_pk_fma_f32 v[72:73], v[146:147], s[12:13], v[34:35] op_sel_hi:[1,0,1]
	v_pk_fma_f32 v[74:75], v[146:147], s[12:13], v[34:35] op_sel_hi:[1,0,1] neg_lo:[0,0,1] neg_hi:[0,0,1]
	v_mov_b32_e32 v34, v72
	v_mov_b32_e32 v35, v75
	s_mov_b32 s30, 0xbf29c268
	v_pk_add_f32 v[152:153], v[10:11], v[12:13] neg_lo:[0,1] neg_hi:[0,1]
	v_pk_add_f32 v[24:25], v[34:35], v[24:25]
	v_pk_add_f32 v[150:151], v[12:13], v[10:11]
	v_pk_mul_f32 v[34:35], v[152:153], s[30:31] op_sel:[1,0] op_sel_hi:[0,0]
	v_pk_fma_f32 v[114:115], v[150:151], s[24:25], v[34:35] op_sel_hi:[1,0,1]
	v_pk_fma_f32 v[120:121], v[150:151], s[24:25], v[34:35] op_sel_hi:[1,0,1] neg_lo:[0,0,1] neg_hi:[0,0,1]
	v_mov_b32_e32 v34, v114
	v_mov_b32_e32 v35, v121
	s_mov_b32 s20, 0x3f7e222b
	v_pk_add_f32 v[154:155], v[34:35], v[28:29]
	v_pk_mul_f32 v[28:29], v[152:153], s[20:21] op_sel:[1,0] op_sel_hi:[0,0]
	v_pk_fma_f32 v[96:97], v[150:151], s[4:5], v[28:29] op_sel_hi:[1,0,1]
	v_pk_fma_f32 v[98:99], v[150:151], s[4:5], v[28:29] op_sel_hi:[1,0,1] neg_lo:[0,0,1] neg_hi:[0,0,1]
	v_mov_b32_e32 v28, v96
	v_mov_b32_e32 v29, v99
	v_pk_add_f32 v[28:29], v[28:29], v[32:33]
	v_pk_mul_f32 v[32:33], v[152:153], s[22:23] op_sel:[1,0] op_sel_hi:[0,0]
	v_pk_fma_f32 v[88:89], v[150:151], s[14:15], v[32:33] op_sel_hi:[1,0,1]
	v_pk_fma_f32 v[90:91], v[150:151], s[14:15], v[32:33] op_sel_hi:[1,0,1] neg_lo:[0,0,1] neg_hi:[0,0,1]
	v_mov_b32_e32 v32, v88
	v_mov_b32_e32 v33, v91
	v_pk_add_f32 v[158:159], v[4:5], v[6:7] neg_lo:[0,1] neg_hi:[0,1]
	v_pk_add_f32 v[24:25], v[32:33], v[24:25]
	v_pk_add_f32 v[156:157], v[6:7], v[4:5]
	v_pk_mul_f32 v[32:33], v[158:159], s[28:29] op_sel:[1,0] op_sel_hi:[0,0]
	v_pk_fma_f32 v[116:117], v[156:157], s[12:13], v[32:33] op_sel_hi:[1,0,1]
	v_pk_fma_f32 v[118:119], v[156:157], s[12:13], v[32:33] op_sel_hi:[1,0,1] neg_lo:[0,0,1] neg_hi:[0,0,1]
	v_mov_b32_e32 v32, v116
	v_mov_b32_e32 v33, v119
	v_pk_add_f32 v[28:29], v[32:33], v[28:29]
	v_pk_mul_f32 v[32:33], v[158:159], s[30:31] op_sel:[1,0] op_sel_hi:[0,0]
	v_pk_fma_f32 v[108:109], v[156:157], s[24:25], v[32:33] op_sel_hi:[1,0,1]
	v_pk_fma_f32 v[110:111], v[156:157], s[24:25], v[32:33] op_sel_hi:[1,0,1] neg_lo:[0,0,1] neg_hi:[0,0,1]
	v_mov_b32_e32 v32, v108
	v_mov_b32_e32 v33, v111
	v_pk_add_f32 v[34:35], v[32:33], v[24:25]
	v_pk_mul_f32 v[24:25], v[76:77], s[18:19] op_sel_hi:[1,0]
	v_pk_mul_f32 v[32:33], v[112:113], s[34:35] op_sel:[1,0] op_sel_hi:[0,0]
	v_pk_fma_f32 v[100:101], v[30:31], s[16:17], v[24:25] op_sel:[0,0,1] op_sel_hi:[1,0,0]
	v_pk_fma_f32 v[102:103], v[30:31], s[16:17], v[24:25] op_sel:[0,0,1] op_sel_hi:[1,0,0] neg_lo:[0,0,1] neg_hi:[0,0,1]
	v_mov_b32_e32 v24, v100
	v_mov_b32_e32 v25, v103
	v_pk_fma_f32 v[104:105], v[82:83], s[24:25], v[32:33] op_sel_hi:[1,0,1]
	v_pk_fma_f32 v[106:107], v[82:83], s[24:25], v[32:33] op_sel_hi:[1,0,1] neg_lo:[0,0,1] neg_hi:[0,0,1]
	v_mov_b32_e32 v32, v104
	v_mov_b32_e32 v33, v107
	v_pk_add_f32 v[24:25], v[24:25], v[0:1]
	s_mov_b32 s34, 0x3f52af12
	v_pk_add_f32 v[24:25], v[32:33], v[24:25]
	v_pk_mul_f32 v[32:33], v[144:145], s[28:29] op_sel:[1,0] op_sel_hi:[0,0]
	v_pk_fma_f32 v[122:123], v[138:139], s[12:13], v[32:33] op_sel_hi:[1,0,1]
	v_pk_fma_f32 v[124:125], v[138:139], s[12:13], v[32:33] op_sel_hi:[1,0,1] neg_lo:[0,0,1] neg_hi:[0,0,1]
	v_mov_b32_e32 v32, v122
	v_mov_b32_e32 v33, v125
	v_pk_add_f32 v[24:25], v[32:33], v[24:25]
	v_pk_mul_f32 v[32:33], v[148:149], s[26:27] op_sel:[1,0] op_sel_hi:[0,0]
	v_pk_fma_f32 v[126:127], v[146:147], s[4:5], v[32:33] op_sel_hi:[1,0,1]
	v_pk_fma_f32 v[128:129], v[146:147], s[4:5], v[32:33] op_sel_hi:[1,0,1] neg_lo:[0,0,1] neg_hi:[0,0,1]
	v_mov_b32_e32 v32, v126
	v_mov_b32_e32 v33, v129
	s_mov_b32 s26, 0x3e750f2a
	v_pk_add_f32 v[24:25], v[32:33], v[24:25]
	v_pk_mul_f32 v[32:33], v[152:153], s[26:27] op_sel:[1,0] op_sel_hi:[0,0]
	v_pk_fma_f32 v[130:131], v[150:151], s[6:7], v[32:33] op_sel_hi:[1,0,1]
	v_pk_fma_f32 v[132:133], v[150:151], s[6:7], v[32:33] op_sel_hi:[1,0,1] neg_lo:[0,0,1] neg_hi:[0,0,1]
	v_mov_b32_e32 v32, v130
	v_mov_b32_e32 v33, v133
	v_pk_add_f32 v[24:25], v[32:33], v[24:25]
	v_pk_mul_f32 v[32:33], v[158:159], s[34:35] op_sel:[1,0] op_sel_hi:[0,0]
	v_pk_fma_f32 v[134:135], v[156:157], s[14:15], v[32:33] op_sel_hi:[1,0,1]
	v_pk_fma_f32 v[136:137], v[156:157], s[14:15], v[32:33] op_sel_hi:[1,0,1] neg_lo:[0,0,1] neg_hi:[0,0,1]
	v_mov_b32_e32 v32, v134
	v_mov_b32_e32 v33, v137
	v_pk_add_f32 v[32:33], v[32:33], v[24:25]
	v_pk_mul_f32 v[24:25], v[76:77], s[30:31] op_sel_hi:[1,0]
	v_pk_mul_f32 v[162:163], v[112:113], s[20:21] op_sel:[1,0] op_sel_hi:[0,0]
	v_pk_fma_f32 v[36:37], v[30:31], s[24:25], v[24:25] op_sel:[0,0,1] op_sel_hi:[1,0,0]
	v_pk_fma_f32 v[24:25], v[30:31], s[24:25], v[24:25] op_sel:[0,0,1] op_sel_hi:[1,0,0] neg_lo:[0,0,1] neg_hi:[0,0,1]
	v_mov_b32_e32 v160, v36
	v_mov_b32_e32 v161, v25
	v_pk_fma_f32 v[164:165], v[82:83], s[4:5], v[162:163] op_sel_hi:[1,0,1]
	v_pk_fma_f32 v[162:163], v[82:83], s[4:5], v[162:163] op_sel_hi:[1,0,1] neg_lo:[0,0,1] neg_hi:[0,0,1]
	v_mov_b32_e32 v166, v164
	v_mov_b32_e32 v167, v163
	v_pk_add_f32 v[160:161], v[160:161], v[0:1]
	v_mov_b32_e32 v25, v37
	v_pk_add_f32 v[160:161], v[166:167], v[160:161]
	v_pk_mul_f32 v[166:167], v[144:145], s[22:23] op_sel:[1,0] op_sel_hi:[0,0]
	v_pk_fma_f32 v[168:169], v[138:139], s[14:15], v[166:167] op_sel_hi:[1,0,1]
	v_pk_fma_f32 v[166:167], v[138:139], s[14:15], v[166:167] op_sel_hi:[1,0,1] neg_lo:[0,0,1] neg_hi:[0,0,1]
	v_mov_b32_e32 v170, v168
	v_mov_b32_e32 v171, v167
	v_pk_add_f32 v[160:161], v[170:171], v[160:161]
	v_pk_mul_f32 v[170:171], v[148:149], s[26:27] op_sel:[1,0] op_sel_hi:[0,0]
	v_mov_b32_e32 v163, v165
	v_pk_add_f32 v[24:25], v[24:25], v[0:1]
	v_pk_fma_f32 v[172:173], v[146:147], s[6:7], v[170:171] op_sel_hi:[1,0,1]
	v_pk_fma_f32 v[170:171], v[146:147], s[6:7], v[170:171] op_sel_hi:[1,0,1] neg_lo:[0,0,1] neg_hi:[0,0,1]
	v_mov_b32_e32 v167, v169
	v_pk_mul_f32 v[36:37], v[152:153], s[28:29] op_sel:[1,0] op_sel_hi:[0,0]
	v_pk_add_f32 v[24:25], v[162:163], v[24:25]
	v_mov_b32_e32 v174, v172
	v_mov_b32_e32 v175, v171
	;; [unrolled: 1-line block ×3, first 2 shown]
	v_pk_fma_f32 v[164:165], v[150:151], s[12:13], v[36:37] op_sel_hi:[1,0,1]
	v_pk_fma_f32 v[36:37], v[150:151], s[12:13], v[36:37] op_sel_hi:[1,0,1] neg_lo:[0,0,1] neg_hi:[0,0,1]
	v_pk_add_f32 v[24:25], v[166:167], v[24:25]
	v_pk_add_f32 v[160:161], v[174:175], v[160:161]
	v_mov_b32_e32 v168, v164
	v_mov_b32_e32 v169, v37
	v_mov_b32_e32 v37, v165
	v_pk_add_f32 v[24:25], v[170:171], v[24:25]
	v_pk_mul_f32 v[76:77], v[76:77], s[10:11] op_sel_hi:[1,0]
	v_pk_add_f32 v[24:25], v[36:37], v[24:25]
	v_pk_add_f32 v[36:37], v[168:169], v[160:161]
	v_pk_mul_f32 v[160:161], v[156:157], s[16:17] op_sel_hi:[1,0]
	v_mul_lo_u16_e32 v122, 13, v140
	v_pk_fma_f32 v[162:163], v[158:159], s[18:19], v[160:161] op_sel:[1,0,0] op_sel_hi:[0,0,1] neg_lo:[1,0,0] neg_hi:[1,0,0]
	v_pk_fma_f32 v[160:161], v[158:159], s[18:19], v[160:161] op_sel:[1,0,0] op_sel_hi:[0,0,1]
	v_mov_b32_e32 v165, v161
	v_mov_b32_e32 v161, v163
	v_pk_add_f32 v[36:37], v[160:161], v[36:37]
	v_pk_fma_f32 v[160:161], v[30:31], s[6:7], v[76:77] op_sel:[0,0,1] op_sel_hi:[1,0,0]
	v_pk_fma_f32 v[30:31], v[30:31], s[6:7], v[76:77] op_sel:[0,0,1] op_sel_hi:[1,0,0] neg_lo:[0,0,1] neg_hi:[0,0,1]
	v_pk_mul_f32 v[76:77], v[112:113], s[28:29] op_sel:[1,0] op_sel_hi:[0,0]
	v_pk_fma_f32 v[112:113], v[82:83], s[12:13], v[76:77] op_sel_hi:[1,0,1]
	v_pk_fma_f32 v[76:77], v[82:83], s[12:13], v[76:77] op_sel_hi:[1,0,1] neg_lo:[0,0,1] neg_hi:[0,0,1]
	v_pk_mul_f32 v[82:83], v[144:145], s[30:31] op_sel:[1,0] op_sel_hi:[0,0]
	v_pk_fma_f32 v[144:145], v[138:139], s[24:25], v[82:83] op_sel_hi:[1,0,1]
	v_pk_fma_f32 v[82:83], v[138:139], s[24:25], v[82:83] op_sel_hi:[1,0,1] neg_lo:[0,0,1] neg_hi:[0,0,1]
	;; [unrolled: 3-line block ×4, first 2 shown]
	v_mov_b32_e32 v150, v160
	v_mov_b32_e32 v151, v31
	;; [unrolled: 1-line block ×6, first 2 shown]
	v_pk_add_f32 v[150:151], v[150:151], v[0:1]
	v_mov_b32_e32 v77, v113
	v_pk_add_f32 v[30:31], v[30:31], v[0:1]
	v_pk_add_f32 v[150:151], v[162:163], v[150:151]
	v_mov_b32_e32 v162, v144
	v_mov_b32_e32 v163, v83
	;; [unrolled: 1-line block ×3, first 2 shown]
	v_pk_add_f32 v[30:31], v[76:77], v[30:31]
	v_pk_add_f32 v[150:151], v[162:163], v[150:151]
	v_mov_b32_e32 v163, v139
	v_mov_b32_e32 v139, v149
	v_pk_add_f32 v[30:31], v[82:83], v[30:31]
	v_pk_mul_f32 v[76:77], v[158:159], s[10:11] op_sel:[1,0] op_sel_hi:[0,0]
	v_pk_add_f32 v[30:31], v[138:139], v[30:31]
	v_pk_fma_f32 v[112:113], v[156:157], s[6:7], v[76:77] op_sel_hi:[1,0,1]
	v_pk_fma_f32 v[138:139], v[156:157], s[6:7], v[76:77] op_sel_hi:[1,0,1] neg_lo:[0,0,1] neg_hi:[0,0,1]
	v_pk_mul_f32 v[76:77], v[158:159], s[20:21] op_sel:[1,0] op_sel_hi:[0,0]
	v_mov_b32_e32 v162, v148
	v_pk_fma_f32 v[144:145], v[156:157], s[4:5], v[76:77] op_sel_hi:[1,0,1] neg_lo:[0,0,1] neg_hi:[0,0,1]
	v_pk_fma_f32 v[76:77], v[156:157], s[4:5], v[76:77] op_sel_hi:[1,0,1]
	s_load_dwordx2 s[4:5], s[0:1], 0x20
	s_load_dwordx2 s[10:11], s[0:1], 0x8
	v_pk_add_f32 v[150:151], v[162:163], v[150:151]
	v_mov_b32_e32 v163, v147
	v_mov_b32_e32 v147, v153
	v_mov_b32_e32 v162, v152
	v_pk_add_f32 v[30:31], v[146:147], v[30:31]
	v_mov_b32_e32 v82, v144
	v_mov_b32_e32 v83, v77
	v_pk_add_f32 v[150:151], v[162:163], v[150:151]
	v_pk_add_f32 v[82:83], v[82:83], v[30:31]
	v_mov_b32_e32 v77, v145
	v_mov_b32_e32 v30, v112
	;; [unrolled: 1-line block ×3, first 2 shown]
	v_pk_add_f32 v[24:25], v[164:165], v[24:25]
	v_pk_add_f32 v[76:77], v[76:77], v[150:151]
	;; [unrolled: 1-line block ×3, first 2 shown]
	s_waitcnt lgkmcnt(0)
	s_barrier
	s_and_saveexec_b64 s[0:1], vcc
	s_cbranch_execz .LBB0_7
; %bb.6:
	v_pk_add_f32 v[2:3], v[2:3], v[0:1]
	v_mov_b32_e32 v51, v49
	v_pk_add_f32 v[2:3], v[16:17], v[2:3]
	v_mov_b32_e32 v59, v57
	;; [unrolled: 2-line block ×5, first 2 shown]
	v_pk_add_f32 v[2:3], v[4:5], v[2:3]
	v_pk_add_f32 v[4:5], v[50:51], v[0:1]
	;; [unrolled: 1-line block ×11, first 2 shown]
	v_mov_b32_e32 v139, v113
	v_mov_b32_e32 v43, v71
	v_add_lshl_u32 v6, v142, v122, 3
	v_pk_add_f32 v[2:3], v[26:27], v[2:3]
	v_pk_add_f32 v[4:5], v[138:139], v[4:5]
	v_mov_b32_e32 v41, v39
	v_mov_b32_e32 v103, v101
	ds_write2_b64 v6, v[2:3], v[4:5] offset1:1
	v_pk_add_f32 v[2:3], v[40:41], v[0:1]
	v_mov_b32_e32 v55, v53
	v_pk_add_f32 v[4:5], v[42:43], v[0:1]
	v_mov_b32_e32 v47, v45
	;; [unrolled: 2-line block ×15, first 2 shown]
	v_pk_add_f32 v[2:3], v[118:119], v[2:3]
	v_pk_add_f32 v[4:5], v[110:111], v[4:5]
	;; [unrolled: 1-line block ×3, first 2 shown]
	ds_write2_b64 v6, v[2:3], v[4:5] offset0:2 offset1:3
	ds_write2_b64 v6, v[0:1], v[24:25] offset0:4 offset1:5
	;; [unrolled: 1-line block ×5, first 2 shown]
	ds_write_b64 v6, v[30:31] offset:96
.LBB0_7:
	s_or_b64 exec, exec, s[0:1]
	v_add_lshl_u32 v114, v142, v140, 3
	v_add_u32_e32 v0, 0x400, v114
	s_waitcnt lgkmcnt(0)
	s_barrier
	ds_read2_b64 v[16:19], v114 offset1:91
	ds_read2_b64 v[20:23], v0 offset0:54 offset1:145
	ds_read_b64 v[26:27], v114 offset:2912
	v_cmp_gt_u16_e64 s[0:1], 26, v140
	s_and_saveexec_b64 s[6:7], s[0:1]
	s_cbranch_execz .LBB0_9
; %bb.8:
	ds_read2_b64 v[2:5], v114 offset0:65 offset1:156
	ds_read2_b64 v[6:9], v0 offset0:119 offset1:210
	ds_read_b64 v[32:33], v114 offset:3432
	s_waitcnt lgkmcnt(2)
	v_mov_b64_e32 v[24:25], v[2:3]
	s_waitcnt lgkmcnt(1)
	v_mov_b64_e32 v[76:77], v[6:7]
	v_mov_b64_e32 v[36:37], v[8:9]
	;; [unrolled: 1-line block ×3, first 2 shown]
.LBB0_9:
	s_or_b64 exec, exec, s[6:7]
	s_movk_i32 s6, 0x4f
	v_mul_lo_u16_sdwa v0, v140, s6 dst_sel:DWORD dst_unused:UNUSED_PAD src0_sel:BYTE_0 src1_sel:DWORD
	v_lshrrev_b16_e32 v38, 10, v0
	v_add_u16_e32 v0, 0x41, v140
	v_mul_lo_u16_sdwa v1, v0, s6 dst_sel:DWORD dst_unused:UNUSED_PAD src0_sel:BYTE_0 src1_sel:DWORD
	v_lshrrev_b16_e32 v116, 10, v1
	v_mul_lo_u16_e32 v1, 13, v116
	v_mov_b32_e32 v8, 5
	v_sub_u16_e32 v117, v0, v1
	v_lshlrev_b32_sdwa v9, v8, v117 dst_sel:DWORD dst_unused:UNUSED_PAD src0_sel:DWORD src1_sel:BYTE_0
	global_load_dwordx4 v[0:3], v9, s[10:11] offset:16
	global_load_dwordx4 v[4:7], v9, s[10:11]
	v_mul_lo_u16_e32 v9, 13, v38
	v_sub_u16_e32 v39, v140, v9
	v_lshlrev_b32_sdwa v40, v8, v39 dst_sel:DWORD dst_unused:UNUSED_PAD src0_sel:DWORD src1_sel:BYTE_0
	global_load_dwordx4 v[12:15], v40, s[10:11]
	global_load_dwordx4 v[8:11], v40, s[10:11] offset:16
	v_mul_u32_u24_e32 v38, 0x41, v38
	v_add_u32_sdwa v38, v38, v39 dst_sel:DWORD dst_unused:UNUSED_PAD src0_sel:DWORD src1_sel:BYTE_0
	v_add_lshl_u32 v118, v142, v38, 3
	s_mov_b32 s16, 0x3f737871
	s_mov_b32 s12, 0x3f167918
	;; [unrolled: 1-line block ×3, first 2 shown]
	s_load_dwordx4 s[4:7], s[4:5], 0x0
	s_waitcnt lgkmcnt(0)
	s_barrier
	s_waitcnt vmcnt(3)
	v_pk_mul_f32 v[46:47], v[36:37], v[0:1] op_sel:[1,0]
	s_waitcnt vmcnt(2)
	v_pk_mul_f32 v[38:39], v[82:83], v[4:5] op_sel:[1,0]
	v_pk_mul_f32 v[44:45], v[76:77], v[6:7] op_sel:[1,0]
	;; [unrolled: 1-line block ×3, first 2 shown]
	s_waitcnt vmcnt(1)
	v_pk_mul_f32 v[50:51], v[18:19], v[12:13] op_sel:[0,1]
	v_mov_b32_e32 v52, v15
	s_waitcnt vmcnt(0)
	v_pk_mul_f32 v[54:55], v[22:23], v[8:9] op_sel:[0,1]
	v_mov_b32_e32 v56, v11
	v_pk_fma_f32 v[40:41], v[82:83], v[4:5], v[38:39] op_sel:[0,0,1] op_sel_hi:[1,1,0] neg_lo:[0,0,1] neg_hi:[0,0,1]
	v_pk_fma_f32 v[38:39], v[82:83], v[4:5], v[38:39] op_sel:[0,0,1] op_sel_hi:[0,1,0]
	v_pk_fma_f32 v[42:43], v[76:77], v[6:7], v[44:45] op_sel:[0,0,1] op_sel_hi:[1,1,0] neg_lo:[0,0,1] neg_hi:[0,0,1]
	v_pk_fma_f32 v[58:59], v[76:77], v[6:7], v[44:45] op_sel:[0,0,1] op_sel_hi:[0,1,0]
	;; [unrolled: 2-line block ×5, first 2 shown]
	v_pk_mul_f32 v[50:51], v[20:21], v[52:53] op_sel_hi:[1,0]
	v_pk_fma_f32 v[52:53], v[22:23], v[8:9], v[54:55] op_sel:[0,0,1] op_sel_hi:[1,1,0] neg_lo:[0,0,1] neg_hi:[0,0,1]
	v_pk_fma_f32 v[22:23], v[22:23], v[8:9], v[54:55] op_sel:[0,0,1] op_sel_hi:[1,0,0]
	v_pk_mul_f32 v[54:55], v[26:27], v[56:57] op_sel_hi:[1,0]
	v_mov_b32_e32 v41, v39
	v_mov_b32_e32 v43, v59
	;; [unrolled: 1-line block ×5, first 2 shown]
	v_pk_fma_f32 v[56:57], v[20:21], v[14:15], v[50:51] op_sel:[0,0,1] op_sel_hi:[1,1,0] neg_lo:[0,0,1] neg_hi:[0,0,1]
	v_pk_fma_f32 v[20:21], v[20:21], v[14:15], v[50:51] op_sel:[0,0,1] op_sel_hi:[1,0,0]
	v_mov_b32_e32 v53, v23
	v_pk_fma_f32 v[50:51], v[26:27], v[10:11], v[54:55] op_sel:[0,0,1] op_sel_hi:[1,1,0] neg_lo:[0,0,1] neg_hi:[0,0,1]
	v_pk_fma_f32 v[22:23], v[26:27], v[10:11], v[54:55] op_sel:[0,0,1] op_sel_hi:[1,0,0]
	v_pk_add_f32 v[26:27], v[42:43], v[44:45]
	v_pk_add_f32 v[36:37], v[40:41], v[42:43] neg_lo:[0,1] neg_hi:[0,1]
	v_pk_add_f32 v[38:39], v[46:47], v[44:45] neg_lo:[0,1] neg_hi:[0,1]
	v_pk_add_f32 v[54:55], v[40:41], v[46:47]
	v_pk_add_f32 v[32:33], v[40:41], v[46:47] neg_lo:[0,1] neg_hi:[0,1]
	v_pk_add_f32 v[18:19], v[42:43], v[44:45] neg_lo:[0,1] neg_hi:[0,1]
	v_mov_b32_e32 v57, v21
	v_mov_b32_e32 v51, v23
	v_pk_add_f32 v[20:21], v[16:17], v[48:49]
	v_pk_fma_f32 v[26:27], v[26:27], 0.5, v[24:25] op_sel_hi:[1,0,1] neg_lo:[1,0,0] neg_hi:[1,0,0]
	v_pk_add_f32 v[22:23], v[36:37], v[38:39]
	v_pk_fma_f32 v[36:37], v[54:55], 0.5, v[24:25] op_sel_hi:[1,0,1] neg_lo:[1,0,0] neg_hi:[1,0,0]
	v_pk_add_f32 v[54:55], v[20:21], v[56:57]
	v_pk_fma_f32 v[20:21], v[32:33], s[16:17], v[26:27] op_sel:[1,0,0] op_sel_hi:[0,0,1] neg_lo:[1,0,0] neg_hi:[1,0,0]
	v_pk_fma_f32 v[26:27], v[32:33], s[16:17], v[26:27] op_sel:[1,0,0] op_sel_hi:[0,0,1]
	v_pk_fma_f32 v[64:65], v[18:19], s[16:17], v[36:37] op_sel:[1,0,0] op_sel_hi:[0,0,1] neg_lo:[1,0,0] neg_hi:[1,0,0]
	v_pk_fma_f32 v[36:37], v[18:19], s[16:17], v[36:37] op_sel:[1,0,0] op_sel_hi:[0,0,1]
	v_pk_add_f32 v[58:59], v[42:43], v[40:41] neg_lo:[0,1] neg_hi:[0,1]
	v_pk_add_f32 v[62:63], v[44:45], v[46:47] neg_lo:[0,1] neg_hi:[0,1]
	v_pk_fma_f32 v[66:67], v[18:19], s[12:13], v[20:21] op_sel:[1,0,0] op_sel_hi:[0,0,1] neg_lo:[1,0,0] neg_hi:[1,0,0]
	v_pk_fma_f32 v[68:69], v[18:19], s[12:13], v[26:27] op_sel:[1,0,0] op_sel_hi:[0,0,1]
	v_pk_fma_f32 v[64:65], v[32:33], s[12:13], v[64:65] op_sel:[1,0,0] op_sel_hi:[0,0,1]
	v_pk_fma_f32 v[32:33], v[32:33], s[12:13], v[36:37] op_sel:[1,0,0] op_sel_hi:[0,0,1] neg_lo:[1,0,0] neg_hi:[1,0,0]
	v_pk_add_f32 v[38:39], v[58:59], v[62:63]
	v_pk_add_f32 v[58:59], v[56:57], v[52:53]
	v_pk_add_f32 v[62:63], v[48:49], v[50:51] neg_lo:[0,1] neg_hi:[0,1]
	v_mov_b32_e32 v67, v69
	v_mov_b32_e32 v69, v65
	;; [unrolled: 1-line block ×3, first 2 shown]
	v_pk_fma_f32 v[58:59], v[58:59], 0.5, v[16:17] op_sel_hi:[1,0,1] neg_lo:[1,0,0] neg_hi:[1,0,0]
	v_mov_b32_e32 v68, v32
	v_pk_fma_f32 v[32:33], v[22:23], s[14:15], v[66:67] op_sel_hi:[1,0,1]
	v_pk_fma_f32 v[36:37], v[38:39], s[14:15], v[64:65] op_sel_hi:[1,0,1]
	v_pk_mul_f32 v[64:65], v[62:63], s[16:17] op_sel_hi:[1,0]
	v_pk_add_f32 v[66:67], v[56:57], v[52:53] neg_lo:[0,1] neg_hi:[0,1]
	v_pk_add_f32 v[70:71], v[48:49], v[56:57] neg_lo:[0,1] neg_hi:[0,1]
	;; [unrolled: 1-line block ×3, first 2 shown]
	v_pk_fma_f32 v[38:39], v[38:39], s[14:15], v[68:69] op_sel_hi:[1,0,1]
	v_pk_mul_f32 v[68:69], v[66:67], s[12:13] op_sel_hi:[1,0]
	v_pk_add_f32 v[70:71], v[70:71], v[72:73]
	v_pk_add_f32 v[72:73], v[58:59], v[64:65] op_sel:[0,1] op_sel_hi:[1,0]
	v_pk_add_f32 v[58:59], v[58:59], v[64:65] op_sel:[0,1] op_sel_hi:[1,0] neg_lo:[0,1] neg_hi:[0,1]
	v_pk_add_f32 v[64:65], v[72:73], v[68:69] op_sel:[0,1] op_sel_hi:[1,0]
	v_pk_add_f32 v[58:59], v[58:59], v[68:69] op_sel:[0,1] op_sel_hi:[1,0] neg_lo:[0,1] neg_hi:[0,1]
	v_pk_add_f32 v[54:55], v[54:55], v[52:53]
	v_mov_b32_e32 v68, v64
	v_mov_b32_e32 v69, v59
	v_pk_add_f32 v[54:55], v[54:55], v[50:51]
	v_pk_fma_f32 v[68:69], v[70:71], s[14:15], v[68:69] op_sel_hi:[1,0,1]
	ds_write2_b64 v118, v[54:55], v[68:69] offset1:13
	v_pk_add_f32 v[54:55], v[48:49], v[50:51]
	v_pk_add_f32 v[48:49], v[56:57], v[48:49] neg_lo:[0,1] neg_hi:[0,1]
	v_pk_add_f32 v[50:51], v[52:53], v[50:51] neg_lo:[0,1] neg_hi:[0,1]
	v_pk_fma_f32 v[16:17], v[54:55], 0.5, v[16:17] op_sel_hi:[1,0,1] neg_lo:[1,0,0] neg_hi:[1,0,0]
	v_pk_add_f32 v[48:49], v[48:49], v[50:51]
	v_pk_mul_f32 v[50:51], v[66:67], s[16:17] op_sel_hi:[1,0]
	v_pk_mul_f32 v[52:53], v[62:63], s[12:13] op_sel_hi:[1,0]
	v_pk_add_f32 v[54:55], v[16:17], v[50:51] op_sel:[0,1] op_sel_hi:[1,0] neg_lo:[0,1] neg_hi:[0,1]
	v_pk_add_f32 v[16:17], v[16:17], v[50:51] op_sel:[0,1] op_sel_hi:[1,0]
	v_pk_add_f32 v[50:51], v[54:55], v[52:53] op_sel:[0,1] op_sel_hi:[1,0]
	v_pk_add_f32 v[16:17], v[16:17], v[52:53] op_sel:[0,1] op_sel_hi:[1,0] neg_lo:[0,1] neg_hi:[0,1]
	v_mov_b32_e32 v52, v50
	v_mov_b32_e32 v53, v17
	;; [unrolled: 1-line block ×3, first 2 shown]
	v_pk_fma_f32 v[52:53], v[48:49], s[14:15], v[52:53] op_sel_hi:[1,0,1]
	v_pk_fma_f32 v[16:17], v[48:49], s[14:15], v[16:17] op_sel_hi:[1,0,1]
	v_mov_b32_e32 v59, v65
	ds_write2_b64 v118, v[52:53], v[16:17] offset0:26 offset1:39
	v_pk_fma_f32 v[16:17], v[70:71], s[14:15], v[58:59] op_sel_hi:[1,0,1]
	ds_write_b64 v118, v[16:17] offset:416
	s_and_saveexec_b64 s[16:17], s[0:1]
	s_cbranch_execz .LBB0_11
; %bb.10:
	v_pk_mul_f32 v[16:17], v[18:19], s[12:13] op_sel:[1,0] op_sel_hi:[0,0]
	v_pk_mul_f32 v[18:19], v[22:23], s[14:15] op_sel_hi:[1,0]
	v_mul_u32_u24_e32 v22, 0x41, v116
	v_add_u32_sdwa v22, v22, v117 dst_sel:DWORD dst_unused:UNUSED_PAD src0_sel:DWORD src1_sel:BYTE_0
	v_add_lshl_u32 v48, v142, v22, 3
	v_pk_add_f32 v[22:23], v[24:25], v[40:41]
	v_pk_add_f32 v[24:25], v[26:27], v[16:17]
	;; [unrolled: 1-line block ×3, first 2 shown]
	v_pk_add_f32 v[16:17], v[20:21], v[16:17] neg_lo:[0,1] neg_hi:[0,1]
	v_pk_add_f32 v[22:23], v[22:23], v[44:45]
	v_mov_b32_e32 v25, v17
	v_pk_add_f32 v[22:23], v[22:23], v[46:47]
	v_pk_add_f32 v[16:17], v[18:19], v[24:25]
	ds_write2_b64 v48, v[22:23], v[16:17] offset1:13
	ds_write2_b64 v48, v[36:37], v[38:39] offset0:26 offset1:39
	ds_write_b64 v48, v[32:33] offset:416
.LBB0_11:
	s_or_b64 exec, exec, s[16:17]
	v_mad_u64_u32 v[40:41], s[10:11], v140, 48, s[10:11]
	s_waitcnt lgkmcnt(0)
	s_barrier
	global_load_dwordx4 v[24:27], v[40:41], off offset:432
	global_load_dwordx4 v[20:23], v[40:41], off offset:416
	;; [unrolled: 1-line block ×3, first 2 shown]
	ds_read2_b64 v[40:43], v114 offset0:65 offset1:130
	v_add_u32_e32 v44, 0x400, v114
	v_add_u32_e32 v48, 0x800, v114
	ds_read2_b64 v[44:47], v44 offset0:67 offset1:132
	ds_read2_b64 v[48:51], v48 offset0:69 offset1:134
	ds_read_b64 v[52:53], v114
	s_mov_b32 s16, 0x3eae86e6
	s_waitcnt lgkmcnt(3)
	v_mov_b32_e32 v54, v43
	s_waitcnt lgkmcnt(2)
	v_mov_b32_e32 v55, v46
	;; [unrolled: 2-line block ×3, first 2 shown]
	v_mov_b32_e32 v57, v44
	s_mov_b32 s12, 0x3d64c772
	s_mov_b32 s17, 0xbf08b237
	;; [unrolled: 1-line block ×8, first 2 shown]
	v_lshl_add_u32 v115, v140, 3, v141
	s_waitcnt vmcnt(2)
	v_mul_f32_e32 v59, v45, v24
	v_mul_f32_e32 v63, v44, v25
	;; [unrolled: 1-line block ×4, first 2 shown]
	s_waitcnt vmcnt(1)
	v_mul_f32_e32 v58, v43, v23
	s_waitcnt vmcnt(0)
	v_mul_f32_e32 v62, v49, v17
	v_mov_b32_e32 v43, v47
	v_mov_b32_e32 v46, v23
	;; [unrolled: 1-line block ×6, first 2 shown]
	v_pk_mul_f32 v[68:69], v[40:41], v[20:21] op_sel_hi:[1,0]
	v_mov_b32_e32 v70, v22
	v_mov_b32_e32 v71, v26
	v_mov_b32_e32 v72, v16
	v_mov_b32_e32 v73, v24
	v_pk_mul_f32 v[74:75], v[50:51], v[18:19] op_sel_hi:[1,0]
	v_mov_b32_e32 v64, v19
	v_fma_f32 v58, v42, v22, -v58
	v_pk_mul_f32 v[42:43], v[42:43], v[46:47]
	v_pk_mul_f32 v[44:45], v[48:49], v[44:45]
	v_fma_f32 v62, v48, v16, -v62
	v_pk_fma_f32 v[76:77], v[40:41], v[20:21], v[68:69] op_sel:[0,1,1] op_sel_hi:[1,1,0]
	v_pk_fma_f32 v[40:41], v[40:41], v[20:21], v[68:69] op_sel:[0,1,1] op_sel_hi:[1,1,0] neg_lo:[1,0,0] neg_hi:[1,0,0]
	v_pk_fma_f32 v[46:47], v[50:51], v[64:65], v[74:75] op_sel:[0,0,1] op_sel_hi:[1,0,0]
	v_pk_fma_f32 v[48:49], v[50:51], v[64:65], v[74:75] op_sel:[0,0,1] op_sel_hi:[1,0,0] neg_lo:[1,0,0] neg_hi:[1,0,0]
	v_pk_fma_f32 v[68:69], v[54:55], v[22:23], v[42:43]
	v_pk_fma_f32 v[42:43], v[54:55], v[70:71], v[42:43] neg_lo:[0,0,1] neg_hi:[0,0,1]
	v_pk_fma_f32 v[54:55], v[56:57], v[16:17], v[44:45]
	v_pk_fma_f32 v[44:45], v[56:57], v[72:73], v[44:45] neg_lo:[0,0,1] neg_hi:[0,0,1]
	v_mov_b32_e32 v77, v41
	v_mov_b32_e32 v47, v49
	;; [unrolled: 1-line block ×6, first 2 shown]
	v_pk_add_f32 v[50:51], v[58:59], v[62:63]
	v_pk_add_f32 v[56:57], v[76:77], v[46:47]
	;; [unrolled: 1-line block ×4, first 2 shown]
	v_mov_b32_e32 v41, v58
	v_mov_b32_e32 v49, v62
	v_mov_b32_e32 v48, v51
	v_mov_b32_e32 v42, v45
	v_mov_b32_e32 v44, v43
	v_mov_b32_e32 v40, v65
	v_mov_b32_e32 v45, v56
	v_mov_b32_e32 v43, v66
	v_pk_add_f32 v[58:59], v[76:77], v[46:47] neg_lo:[0,1] neg_hi:[0,1]
	v_pk_add_f32 v[54:55], v[68:69], v[54:55] neg_lo:[0,1] neg_hi:[0,1]
	v_pk_add_f32 v[46:47], v[50:51], v[64:65]
	v_pk_add_f32 v[48:49], v[40:41], v[48:49] neg_lo:[0,1] neg_hi:[0,1]
	v_pk_add_f32 v[42:43], v[42:43], v[44:45]
	v_mov_b32_e32 v63, v56
	v_mov_b32_e32 v69, v59
	;; [unrolled: 1-line block ×3, first 2 shown]
	v_pk_add_f32 v[44:45], v[54:55], v[48:49]
	v_mov_b32_e32 v68, v48
	v_mov_b32_e32 v62, v42
	;; [unrolled: 1-line block ×7, first 2 shown]
	v_pk_add_f32 v[68:69], v[68:69], v[54:55] neg_lo:[0,1] neg_hi:[0,1]
	v_pk_add_f32 v[42:43], v[46:47], v[42:43]
	v_pk_add_f32 v[72:73], v[44:45], v[58:59]
	v_pk_add_f32 v[44:45], v[62:63], v[50:51] neg_lo:[0,1] neg_hi:[0,1]
	v_pk_add_f32 v[70:71], v[70:71], v[48:49] neg_lo:[0,1] neg_hi:[0,1]
	;; [unrolled: 1-line block ×3, first 2 shown]
	s_waitcnt lgkmcnt(0)
	v_pk_add_f32 v[62:63], v[52:53], v[42:43]
	v_pk_mul_f32 v[52:53], v[44:45], s[12:13]
	v_pk_mul_f32 v[68:69], v[68:69], s[18:19]
	;; [unrolled: 1-line block ×3, first 2 shown]
	s_mov_b32 s12, 0x3ee1c552
	v_pk_fma_f32 v[78:79], v[42:43], s[10:11], v[62:63] op_sel_hi:[1,0,1]
	v_pk_fma_f32 v[40:41], v[40:41], s[14:15], v[52:53]
	v_pk_fma_f32 v[42:43], v[70:71], s[16:17], v[68:69]
	v_pk_mul_f32 v[76:77], v[70:71], s[16:17]
	v_pk_add_f32 v[40:41], v[40:41], v[78:79]
	v_pk_fma_f32 v[42:43], v[72:73], s[12:13], v[42:43] op_sel_hi:[1,0,1]
	v_mov_b32_e32 v55, v49
	v_mov_b32_e32 v51, v66
	;; [unrolled: 1-line block ×3, first 2 shown]
	v_pk_add_f32 v[70:71], v[40:41], v[42:43]
	v_pk_add_f32 v[46:47], v[40:41], v[42:43] neg_lo:[0,1] neg_hi:[0,1]
	v_pk_add_f32 v[48:49], v[54:55], v[58:59] neg_lo:[0,1] neg_hi:[0,1]
	;; [unrolled: 1-line block ×3, first 2 shown]
	s_mov_b32 s10, 0x3f3bfb3b
	s_mov_b32 s14, 0x3f5ff5aa
	v_mov_b32_e32 v42, v74
	v_mov_b32_e32 v43, v53
	;; [unrolled: 1-line block ×6, first 2 shown]
	v_pk_fma_f32 v[42:43], v[50:51], s[10:11], v[42:43] op_sel_hi:[1,0,1] neg_lo:[1,0,1] neg_hi:[1,0,1]
	v_pk_fma_f32 v[44:45], v[48:49], s[14:15], v[44:45] op_sel_hi:[1,0,1] neg_lo:[1,0,1] neg_hi:[1,0,1]
	;; [unrolled: 1-line block ×4, first 2 shown]
	v_pk_add_f32 v[42:43], v[42:43], v[78:79]
	v_pk_fma_f32 v[44:45], v[72:73], s[12:13], v[44:45] op_sel_hi:[1,0,1]
	v_pk_add_f32 v[50:51], v[50:51], v[78:79]
	v_pk_fma_f32 v[48:49], v[72:73], s[12:13], v[48:49] op_sel_hi:[1,0,1]
	v_pk_add_f32 v[56:57], v[42:43], v[44:45]
	v_pk_add_f32 v[44:45], v[42:43], v[44:45] neg_lo:[0,1] neg_hi:[0,1]
	v_pk_add_f32 v[58:59], v[50:51], v[48:49] neg_lo:[0,1] neg_hi:[0,1]
	v_pk_add_f32 v[54:55], v[50:51], v[48:49]
	v_mov_b32_e32 v40, v70
	v_mov_b32_e32 v41, v47
	;; [unrolled: 1-line block ×7, first 2 shown]
	v_add_u32_e32 v48, 0x400, v115
	v_mov_b32_e32 v45, v57
	v_mov_b32_e32 v47, v71
	v_add_u32_e32 v49, 0x800, v115
	ds_write_b64 v115, v[62:63]
	ds_write2_b64 v115, v[40:41], v[42:43] offset0:65 offset1:130
	ds_write2_b64 v48, v[52:53], v[54:55] offset0:67 offset1:132
	;; [unrolled: 1-line block ×3, first 2 shown]
	s_waitcnt lgkmcnt(0)
	s_barrier
	s_and_saveexec_b64 s[10:11], vcc
	s_cbranch_execz .LBB0_13
; %bb.12:
	global_load_dwordx2 v[50:51], v61, s[2:3] offset:3640
	s_add_u32 s12, s2, 0xe38
	s_addc_u32 s13, s3, 0
	global_load_dwordx2 v[84:85], v61, s[12:13] offset:280
	global_load_dwordx2 v[86:87], v61, s[12:13] offset:560
	;; [unrolled: 1-line block ×12, first 2 shown]
	ds_read_b64 v[56:57], v115
	s_waitcnt vmcnt(12) lgkmcnt(0)
	v_mul_f32_e32 v58, v57, v51
	v_mul_f32_e32 v59, v56, v51
	v_fma_f32 v58, v56, v50, -v58
	v_fmac_f32_e32 v59, v57, v50
	ds_write_b64 v115, v[58:59]
	ds_read2_b64 v[56:59], v115 offset0:35 offset1:70
	ds_read2_b64 v[64:67], v115 offset0:105 offset1:140
	;; [unrolled: 1-line block ×6, first 2 shown]
	s_waitcnt vmcnt(11) lgkmcnt(5)
	v_mul_f32_e32 v50, v57, v85
	v_mul_f32_e32 v51, v56, v85
	s_waitcnt vmcnt(10)
	v_mul_f32_e32 v108, v59, v87
	v_mul_f32_e32 v85, v58, v87
	s_waitcnt vmcnt(9) lgkmcnt(4)
	v_mul_f32_e32 v109, v65, v89
	v_mul_f32_e32 v87, v64, v89
	s_waitcnt vmcnt(8)
	v_mul_f32_e32 v110, v67, v91
	v_mul_f32_e32 v89, v66, v91
	;; [unrolled: 6-line block ×6, first 2 shown]
	v_fma_f32 v50, v56, v84, -v50
	v_fmac_f32_e32 v51, v57, v84
	v_fma_f32 v84, v58, v86, -v108
	v_fmac_f32_e32 v85, v59, v86
	;; [unrolled: 2-line block ×12, first 2 shown]
	ds_write2_b64 v115, v[50:51], v[84:85] offset0:35 offset1:70
	ds_write2_b64 v115, v[86:87], v[88:89] offset0:105 offset1:140
	;; [unrolled: 1-line block ×6, first 2 shown]
.LBB0_13:
	s_or_b64 exec, exec, s[10:11]
	s_waitcnt lgkmcnt(0)
	s_barrier
	s_and_saveexec_b64 s[10:11], vcc
	s_cbranch_execz .LBB0_15
; %bb.14:
	ds_read_b64 v[62:63], v115
	ds_read2_b64 v[40:43], v115 offset0:35 offset1:70
	ds_read2_b64 v[52:55], v115 offset0:105 offset1:140
	ds_read2_b64 v[44:47], v115 offset0:175 offset1:210
	v_add_u32_e32 v36, 0x400, v115
	v_add_u32_e32 v32, 0x800, v115
	ds_read2_b64 v[28:31], v32 offset0:129 offset1:164
	ds_read2_b64 v[32:35], v32 offset0:59 offset1:94
	;; [unrolled: 1-line block ×3, first 2 shown]
.LBB0_15:
	s_or_b64 exec, exec, s[10:11]
	s_waitcnt lgkmcnt(2)
	v_pk_add_f32 v[56:57], v[40:41], v[30:31] neg_lo:[0,1] neg_hi:[0,1]
	v_pk_add_f32 v[100:101], v[40:41], v[30:31]
	s_mov_b32 s16, 0xbf3f9e67
	v_mov_b32_e32 v66, v100
	v_mov_b32_e32 v100, v57
	v_pk_add_f32 v[58:59], v[42:43], v[28:29] neg_lo:[0,1] neg_hi:[0,1]
	v_pk_add_f32 v[98:99], v[42:43], v[28:29]
	s_mov_b32 s19, 0xbeb58ec6
	s_mov_b32 s18, 0xbf6f5d39
	;; [unrolled: 1-line block ×3, first 2 shown]
	v_mov_b32_e32 v67, v56
	v_mov_b32_e32 v68, v98
	;; [unrolled: 1-line block ×3, first 2 shown]
	v_pk_mul_f32 v[72:73], v[100:101], s[18:19]
	s_mov_b32 s10, s19
	s_mov_b32 s11, s18
	;; [unrolled: 1-line block ×5, first 2 shown]
	v_mov_b32_e32 v69, v58
	s_waitcnt lgkmcnt(1)
	v_pk_add_f32 v[120:121], v[52:53], v[34:35] neg_lo:[0,1] neg_hi:[0,1]
	v_pk_add_f32 v[48:49], v[52:53], v[34:35]
	v_pk_fma_f32 v[50:51], v[66:67], s[10:11], v[72:73] neg_lo:[0,0,1] neg_hi:[0,0,1]
	v_pk_fma_f32 v[74:75], v[66:67], s[10:11], v[72:73]
	v_pk_mul_f32 v[82:83], v[98:99], s[12:13]
	s_mov_b32 s21, 0x3eedf032
	v_mov_b32_e32 v96, v121
	v_mov_b32_e32 v97, v49
	;; [unrolled: 1-line block ×3, first 2 shown]
	v_pk_fma_f32 v[64:65], v[68:69], s[16:17], v[82:83] neg_lo:[0,0,1] neg_hi:[0,0,1]
	v_pk_fma_f32 v[84:85], v[68:69], s[16:17], v[82:83]
	s_mov_b32 s30, s21
	s_mov_b32 s31, s20
	v_mov_b32_e32 v70, v48
	v_mov_b32_e32 v71, v120
	v_pk_add_f32 v[50:51], v[62:63], v[50:51]
	v_mov_b32_e32 v65, v85
	v_pk_mul_f32 v[92:93], v[96:97], s[30:31]
	v_pk_add_f32 v[50:51], v[64:65], v[50:51]
	v_pk_fma_f32 v[64:65], v[70:71], s[20:21], v[92:93] neg_lo:[0,0,1] neg_hi:[0,0,1]
	v_pk_fma_f32 v[94:95], v[70:71], s[20:21], v[92:93]
	v_pk_add_f32 v[90:91], v[54:55], v[32:33] neg_lo:[0,1] neg_hi:[0,1]
	v_mov_b32_e32 v65, v95
	s_mov_b32 s26, 0xbf7e222b
	v_pk_add_f32 v[88:89], v[32:33], v[54:55]
	v_pk_add_f32 v[50:51], v[64:65], v[50:51]
	s_mov_b32 s12, 0x3df6dbef
	v_pk_mul_f32 v[64:65], v[90:91], s[26:27] op_sel_hi:[1,0]
	s_mov_b32 s28, 0xbe750f2a
	v_pk_fma_f32 v[102:103], v[88:89], s[12:13], v[64:65] op_sel:[0,0,1] op_sel_hi:[1,0,0] neg_lo:[0,0,1] neg_hi:[0,0,1]
	v_pk_fma_f32 v[104:105], v[88:89], s[12:13], v[64:65] op_sel:[0,0,1] op_sel_hi:[1,0,0]
	s_waitcnt lgkmcnt(0)
	v_pk_add_f32 v[86:87], v[44:45], v[38:39] neg_lo:[0,1] neg_hi:[0,1]
	v_mov_b32_e32 v64, v102
	v_mov_b32_e32 v65, v105
	s_mov_b32 s29, 0xbf788fa5
	s_mov_b32 s34, 0x3e750f2a
	v_pk_add_f32 v[80:81], v[38:39], v[44:45]
	v_pk_add_f32 v[50:51], v[64:65], v[50:51]
	s_mov_b32 s22, s29
	v_pk_mul_f32 v[64:65], v[86:87], s[34:35] op_sel_hi:[1,0]
	v_pk_add_f32 v[78:79], v[46:47], v[36:37] neg_lo:[0,1] neg_hi:[0,1]
	v_pk_fma_f32 v[106:107], v[80:81], s[22:23], v[64:65] op_sel:[0,0,1] op_sel_hi:[1,0,0] neg_lo:[0,0,1] neg_hi:[0,0,1]
	v_pk_fma_f32 v[108:109], v[80:81], s[22:23], v[64:65] op_sel:[0,0,1] op_sel_hi:[1,0,0]
	v_mov_b32_e32 v64, v106
	v_mov_b32_e32 v65, v109
	s_mov_b32 s36, 0x3f52af12
	v_pk_add_f32 v[76:77], v[36:37], v[46:47]
	v_pk_add_f32 v[50:51], v[64:65], v[50:51]
	s_mov_b32 s14, 0x3f116cb1
	v_pk_mul_f32 v[64:65], v[78:79], s[36:37] op_sel_hi:[1,0]
	v_pk_mul_f32 v[126:127], v[90:91], s[34:35] op_sel_hi:[1,0]
	s_mov_b32 s34, 0xbf29c268
	s_mov_b32 s35, s16
	v_pk_fma_f32 v[110:111], v[76:77], s[14:15], v[64:65] op_sel:[0,0,1] op_sel_hi:[1,0,0] neg_lo:[0,0,1] neg_hi:[0,0,1]
	v_pk_fma_f32 v[112:113], v[76:77], s[14:15], v[64:65] op_sel:[0,0,1] op_sel_hi:[1,0,0]
	v_pk_mul_f32 v[136:137], v[100:101], s[34:35]
	s_mov_b32 s40, s16
	s_mov_b32 s41, s34
	;; [unrolled: 1-line block ×4, first 2 shown]
	v_mov_b32_e32 v64, v110
	v_mov_b32_e32 v65, v113
	s_mov_b32 s24, 0xbf52af12
	v_pk_fma_f32 v[138:139], v[66:67], s[40:41], v[136:137]
	v_pk_fma_f32 v[142:143], v[66:67], s[40:41], v[136:137] neg_lo:[0,0,1] neg_hi:[0,0,1]
	v_pk_mul_f32 v[144:145], v[98:99], s[38:39]
	s_mov_b32 s13, s38
	v_pk_add_f32 v[50:51], v[64:65], v[50:51]
	v_pk_mul_f32 v[64:65], v[120:121], s[24:25] op_sel:[1,0] op_sel_hi:[0,0]
	v_mov_b32_e32 v143, v139
	v_pk_fma_f32 v[146:147], v[68:69], s[12:13], v[144:145]
	v_pk_fma_f32 v[148:149], v[68:69], s[12:13], v[144:145] neg_lo:[0,0,1] neg_hi:[0,0,1]
	v_pk_fma_f32 v[136:137], v[66:67], s[40:41], v[136:137] neg_lo:[1,0,0] neg_hi:[1,0,0]
	v_pk_fma_f32 v[124:125], v[48:49], s[14:15], v[64:65] op_sel_hi:[1,0,1]
	v_pk_fma_f32 v[48:49], v[48:49], s[14:15], v[64:65] op_sel_hi:[1,0,1] neg_lo:[0,0,1] neg_hi:[0,0,1]
	v_pk_fma_f32 v[128:129], v[88:89], s[22:23], v[126:127] op_sel:[0,0,1] op_sel_hi:[1,0,0]
	v_pk_fma_f32 v[126:127], v[88:89], s[22:23], v[126:127] op_sel:[0,0,1] op_sel_hi:[1,0,0] neg_lo:[0,0,1] neg_hi:[0,0,1]
	s_mov_b32 s22, s21
	v_pk_add_f32 v[142:143], v[62:63], v[142:143]
	v_mov_b32_e32 v149, v147
	v_mov_b32_e32 v139, v137
	v_pk_fma_f32 v[144:145], v[68:69], s[12:13], v[144:145] neg_lo:[1,0,0] neg_hi:[1,0,0]
	v_mov_b32_e32 v65, v49
	v_pk_mul_f32 v[132:133], v[86:87], s[22:23] op_sel_hi:[1,0]
	v_pk_add_f32 v[142:143], v[148:149], v[142:143]
	v_mov_b32_e32 v147, v145
	v_pk_add_f32 v[138:139], v[62:63], v[138:139]
	v_mov_b32_e32 v49, v125
	s_mov_b32 s22, s29
	s_mov_b32 s23, s28
	v_mov_b32_e32 v64, v124
	v_mov_b32_e32 v131, v127
	v_pk_add_f32 v[138:139], v[146:147], v[138:139]
	v_pk_add_f32 v[48:49], v[48:49], v[142:143]
	v_mov_b32_e32 v127, v129
	v_pk_mul_f32 v[124:125], v[66:67], s[22:23]
	v_mov_b32_e32 v130, v128
	v_pk_add_f32 v[64:65], v[64:65], v[138:139]
	v_pk_add_f32 v[48:49], v[126:127], v[48:49]
	v_pk_fma_f32 v[56:57], v[56:57], s[28:29], v[124:125] op_sel:[1,0,0] neg_lo:[1,0,0] neg_hi:[1,0,0]
	v_pk_fma_f32 v[126:127], v[100:101], s[28:29], v[124:125]
	v_pk_mul_f32 v[128:129], v[68:69], s[20:21]
	v_pk_add_f32 v[64:65], v[130:131], v[64:65]
	v_mov_b32_e32 v57, v127
	v_pk_fma_f32 v[58:59], v[58:59], s[30:31], v[128:129] op_sel:[1,0,0] neg_lo:[1,0,0] neg_hi:[1,0,0]
	v_pk_fma_f32 v[130:131], v[98:99], s[30:31], v[128:129]
	v_pk_fma_f32 v[134:135], v[80:81], s[20:21], v[132:133] op_sel:[0,0,1] op_sel_hi:[1,0,0]
	v_pk_fma_f32 v[132:133], v[80:81], s[20:21], v[132:133] op_sel:[0,0,1] op_sel_hi:[1,0,0] neg_lo:[0,0,1] neg_hi:[0,0,1]
	v_pk_add_f32 v[56:57], v[62:63], v[56:57]
	v_mov_b32_e32 v59, v131
	v_mov_b32_e32 v149, v133
	;; [unrolled: 1-line block ×3, first 2 shown]
	v_pk_add_f32 v[56:57], v[58:59], v[56:57]
	v_pk_mul_f32 v[58:59], v[70:71], s[40:41]
	v_pk_add_f32 v[48:49], v[132:133], v[48:49]
	v_pk_fma_f32 v[120:121], v[120:121], s[34:35], v[58:59] op_sel:[1,0,0] neg_lo:[1,0,0] neg_hi:[1,0,0]
	v_pk_fma_f32 v[132:133], v[96:97], s[34:35], v[58:59]
	s_mov_b32 s42, s19
	v_pk_mul_f32 v[136:137], v[78:79], s[18:19] op_sel_hi:[1,0]
	v_mov_b32_e32 v121, v133
	v_pk_fma_f32 v[144:145], v[76:77], s[42:43], v[136:137] op_sel:[0,0,1] op_sel_hi:[1,0,0]
	v_pk_fma_f32 v[136:137], v[76:77], s[42:43], v[136:137] op_sel:[0,0,1] op_sel_hi:[1,0,0] neg_lo:[0,0,1] neg_hi:[0,0,1]
	v_pk_add_f32 v[56:57], v[120:121], v[56:57]
	v_pk_mul_f32 v[120:121], v[90:91], s[36:37] op_sel_hi:[1,0]
	v_mov_b32_e32 v148, v134
	v_mov_b32_e32 v147, v137
	;; [unrolled: 1-line block ×3, first 2 shown]
	v_pk_fma_f32 v[134:135], v[88:89], s[14:15], v[120:121] op_sel:[0,0,1] op_sel_hi:[1,0,0] neg_lo:[0,0,1] neg_hi:[0,0,1]
	v_pk_fma_f32 v[120:121], v[88:89], s[14:15], v[120:121] op_sel:[0,0,1] op_sel_hi:[1,0,0]
	v_pk_fma_f32 v[124:125], v[100:101], s[28:29], v[124:125] neg_lo:[0,0,1] neg_hi:[0,0,1]
	v_pk_add_f32 v[48:49], v[136:137], v[48:49]
	v_mov_b32_e32 v136, v134
	v_mov_b32_e32 v137, v121
	;; [unrolled: 1-line block ×3, first 2 shown]
	v_pk_add_f32 v[56:57], v[136:137], v[56:57]
	v_pk_mul_f32 v[136:137], v[86:87], s[18:19] op_sel_hi:[1,0]
	v_pk_add_f32 v[124:125], v[62:63], v[126:127]
	v_pk_fma_f32 v[126:127], v[98:99], s[30:31], v[128:129] neg_lo:[0,0,1] neg_hi:[0,0,1]
	v_pk_fma_f32 v[138:139], v[80:81], s[42:43], v[136:137] op_sel:[0,0,1] op_sel_hi:[1,0,0] neg_lo:[0,0,1] neg_hi:[0,0,1]
	v_pk_fma_f32 v[136:137], v[80:81], s[42:43], v[136:137] op_sel:[0,0,1] op_sel_hi:[1,0,0]
	v_mov_b32_e32 v131, v127
	v_pk_fma_f32 v[58:59], v[96:97], s[34:35], v[58:59] neg_lo:[0,0,1] neg_hi:[0,0,1]
	v_mov_b32_e32 v142, v138
	v_mov_b32_e32 v143, v137
	v_pk_add_f32 v[124:125], v[130:131], v[124:125]
	v_mov_b32_e32 v133, v59
	v_pk_add_f32 v[142:143], v[142:143], v[56:57]
	v_pk_mul_f32 v[56:57], v[78:79], s[38:39] op_sel_hi:[1,0]
	v_pk_add_f32 v[58:59], v[132:133], v[124:125]
	v_mov_b32_e32 v121, v135
	v_pk_add_f32 v[58:59], v[120:121], v[58:59]
	v_mov_b32_e32 v137, v139
	v_pk_fma_f32 v[120:121], v[76:77], s[12:13], v[56:57] op_sel:[0,0,1] op_sel_hi:[1,0,0]
	v_pk_fma_f32 v[124:125], v[76:77], s[12:13], v[56:57] op_sel:[0,0,1] op_sel_hi:[1,0,0] neg_lo:[0,0,1] neg_hi:[0,0,1]
	v_mov_b32_e32 v146, v144
	v_pk_add_f32 v[64:65], v[148:149], v[64:65]
	v_pk_add_f32 v[58:59], v[136:137], v[58:59]
	v_mov_b32_e32 v56, v120
	v_mov_b32_e32 v57, v125
	;; [unrolled: 1-line block ×3, first 2 shown]
	v_pk_add_f32 v[64:65], v[146:147], v[64:65]
	v_pk_add_f32 v[56:57], v[56:57], v[58:59]
	;; [unrolled: 1-line block ×3, first 2 shown]
	s_barrier
	s_and_saveexec_b64 s[30:31], vcc
	s_cbranch_execz .LBB0_17
; %bb.16:
	v_pk_add_f32 v[40:41], v[40:41], v[62:63]
	s_mov_b32 s37, 0xbeedf032
	v_pk_add_f32 v[40:41], v[42:43], v[40:41]
	s_mov_b32 s40, s37
	;; [unrolled: 2-line block ×8, first 2 shown]
	v_pk_add_f32 v[32:33], v[32:33], v[36:37]
	v_pk_mul_f32 v[36:37], v[98:99], s[24:25]
	v_pk_add_f32 v[32:33], v[34:35], v[32:33]
	v_pk_fma_f32 v[38:39], v[68:69], s[14:15], v[36:37]
	v_pk_add_f32 v[28:29], v[28:29], v[32:33]
	v_pk_fma_f32 v[40:41], v[68:69], s[14:15], v[36:37] neg_lo:[1,0,0] neg_hi:[1,0,0]
	v_pk_add_f32 v[28:29], v[30:31], v[28:29]
	v_pk_mul_f32 v[30:31], v[100:101], s[40:41]
	v_mov_b32_e32 v40, v38
	v_pk_fma_f32 v[32:33], v[66:67], s[36:37], v[30:31]
	v_pk_fma_f32 v[34:35], v[66:67], s[36:37], v[30:31] neg_lo:[1,0,0] neg_hi:[1,0,0]
	s_mov_b32 s40, s19
	v_mov_b32_e32 v34, v32
	v_pk_add_f32 v[34:35], v[62:63], v[34:35]
	v_lshl_add_u32 v102, v122, 3, v141
	v_pk_add_f32 v[34:35], v[40:41], v[34:35]
	v_pk_mul_f32 v[40:41], v[96:97], s[26:27]
	v_pk_mul_f32 v[132:133], v[98:99], s[18:19]
	v_pk_fma_f32 v[42:43], v[70:71], s[12:13], v[40:41]
	v_pk_fma_f32 v[44:45], v[70:71], s[12:13], v[40:41] neg_lo:[1,0,0] neg_hi:[1,0,0]
	v_pk_fma_f32 v[134:135], v[68:69], s[10:11], v[132:133]
	v_mov_b32_e32 v44, v42
	v_pk_add_f32 v[34:35], v[44:45], v[34:35]
	v_pk_mul_f32 v[44:45], v[90:91], s[18:19] op_sel_hi:[1,0]
	v_pk_fma_f32 v[136:137], v[68:69], s[10:11], v[132:133] neg_lo:[1,0,0] neg_hi:[1,0,0]
	v_pk_fma_f32 v[46:47], v[88:89], s[40:41], v[44:45] op_sel:[0,0,1] op_sel_hi:[1,0,0]
	v_pk_fma_f32 v[44:45], v[88:89], s[40:41], v[44:45] op_sel:[0,0,1] op_sel_hi:[1,0,0] neg_lo:[0,0,1] neg_hi:[0,0,1]
	v_mov_b32_e32 v52, v46
	v_mov_b32_e32 v53, v45
	v_pk_add_f32 v[34:35], v[52:53], v[34:35]
	v_pk_mul_f32 v[52:53], v[86:87], s[34:35] op_sel_hi:[1,0]
	s_mov_b32 s40, s29
	v_pk_fma_f32 v[54:55], v[80:81], s[16:17], v[52:53] op_sel:[0,0,1] op_sel_hi:[1,0,0]
	v_pk_fma_f32 v[52:53], v[80:81], s[16:17], v[52:53] op_sel:[0,0,1] op_sel_hi:[1,0,0] neg_lo:[0,0,1] neg_hi:[0,0,1]
	v_mov_b32_e32 v122, v54
	v_mov_b32_e32 v123, v53
	v_pk_add_f32 v[34:35], v[122:123], v[34:35]
	v_pk_mul_f32 v[122:123], v[78:79], s[28:29] op_sel_hi:[1,0]
	v_mov_b32_e32 v136, v134
	v_pk_fma_f32 v[128:129], v[76:77], s[40:41], v[122:123] op_sel:[0,0,1] op_sel_hi:[1,0,0]
	v_pk_fma_f32 v[122:123], v[76:77], s[40:41], v[122:123] op_sel:[0,0,1] op_sel_hi:[1,0,0] neg_lo:[0,0,1] neg_hi:[0,0,1]
	v_mov_b32_e32 v130, v128
	v_mov_b32_e32 v131, v123
	v_pk_add_f32 v[34:35], v[130:131], v[34:35]
	ds_write2_b64 v102, v[28:29], v[34:35] offset1:1
	v_pk_mul_f32 v[28:29], v[100:101], s[24:25]
	s_mov_b32 s18, s17
	v_pk_fma_f32 v[34:35], v[66:67], s[14:15], v[28:29]
	v_pk_fma_f32 v[130:131], v[66:67], s[14:15], v[28:29] neg_lo:[1,0,0] neg_hi:[1,0,0]
	v_pk_mul_f32 v[100:101], v[100:101], s[26:27]
	v_mov_b32_e32 v130, v34
	v_pk_add_f32 v[130:131], v[62:63], v[130:131]
	v_pk_fma_f32 v[156:157], v[66:67], s[12:13], v[100:101] neg_lo:[1,0,0] neg_hi:[1,0,0]
	v_pk_add_f32 v[130:131], v[136:137], v[130:131]
	v_pk_mul_f32 v[136:137], v[96:97], s[28:29]
	v_pk_mul_f32 v[98:99], v[98:99], s[28:29]
	v_pk_fma_f32 v[138:139], v[70:71], s[22:23], v[136:137]
	v_pk_fma_f32 v[142:143], v[70:71], s[22:23], v[136:137] neg_lo:[1,0,0] neg_hi:[1,0,0]
	s_mov_b32 s27, 0x3f6f5d39
	v_mov_b32_e32 v142, v138
	v_pk_add_f32 v[130:131], v[142:143], v[130:131]
	v_pk_mul_f32 v[142:143], v[90:91], s[18:19] op_sel_hi:[1,0]
	v_pk_fma_f32 v[158:159], v[68:69], s[22:23], v[98:99]
	v_pk_fma_f32 v[144:145], v[88:89], s[16:17], v[142:143] op_sel:[0,0,1] op_sel_hi:[1,0,0]
	v_pk_fma_f32 v[142:143], v[88:89], s[16:17], v[142:143] op_sel:[0,0,1] op_sel_hi:[1,0,0] neg_lo:[0,0,1] neg_hi:[0,0,1]
	v_mov_b32_e32 v146, v144
	v_mov_b32_e32 v147, v143
	v_pk_add_f32 v[130:131], v[146:147], v[130:131]
	v_pk_mul_f32 v[146:147], v[86:87], s[38:39] op_sel_hi:[1,0]
	s_mov_b32 s38, s21
	v_pk_fma_f32 v[148:149], v[80:81], s[12:13], v[146:147] op_sel:[0,0,1] op_sel_hi:[1,0,0]
	v_pk_fma_f32 v[146:147], v[80:81], s[12:13], v[146:147] op_sel:[0,0,1] op_sel_hi:[1,0,0] neg_lo:[0,0,1] neg_hi:[0,0,1]
	v_mov_b32_e32 v150, v148
	v_mov_b32_e32 v151, v147
	v_pk_add_f32 v[130:131], v[150:151], v[130:131]
	v_pk_mul_f32 v[150:151], v[78:79], s[38:39] op_sel_hi:[1,0]
	v_pk_fma_f32 v[160:161], v[68:69], s[22:23], v[98:99] neg_lo:[1,0,0] neg_hi:[1,0,0]
	v_pk_fma_f32 v[152:153], v[76:77], s[20:21], v[150:151] op_sel:[0,0,1] op_sel_hi:[1,0,0]
	v_pk_fma_f32 v[150:151], v[76:77], s[20:21], v[150:151] op_sel:[0,0,1] op_sel_hi:[1,0,0] neg_lo:[0,0,1] neg_hi:[0,0,1]
	v_mov_b32_e32 v154, v152
	v_mov_b32_e32 v155, v151
	v_pk_add_f32 v[130:131], v[154:155], v[130:131]
	v_pk_fma_f32 v[154:155], v[66:67], s[12:13], v[100:101]
	s_mov_b32 s18, s27
	v_mov_b32_e32 v156, v154
	v_pk_mul_f32 v[120:121], v[66:67], s[10:11]
	v_pk_add_f32 v[156:157], v[62:63], v[156:157]
	v_mov_b32_e32 v160, v158
	s_mov_b32 s26, s19
	v_pk_mul_f32 v[96:97], v[96:97], s[18:19]
	v_pk_add_f32 v[156:157], v[160:161], v[156:157]
	v_pk_fma_f32 v[160:161], v[70:71], s[26:27], v[96:97]
	v_pk_fma_f32 v[162:163], v[70:71], s[26:27], v[96:97] neg_lo:[1,0,0] neg_hi:[1,0,0]
	v_pk_add_f32 v[72:73], v[72:73], v[120:121] neg_lo:[0,1] neg_hi:[0,1]
	v_pk_mul_f32 v[124:125], v[68:69], s[16:17]
	v_mov_b32_e32 v162, v160
	v_pk_mul_f32 v[90:91], v[90:91], s[38:39] op_sel_hi:[1,0]
	v_mov_b32_e32 v75, v73
	v_pk_mul_f32 v[126:127], v[70:71], s[20:21]
	v_pk_add_f32 v[156:157], v[162:163], v[156:157]
	v_pk_fma_f32 v[162:163], v[88:89], s[20:21], v[90:91] op_sel:[0,0,1] op_sel_hi:[1,0,0]
	v_pk_fma_f32 v[88:89], v[88:89], s[20:21], v[90:91] op_sel:[0,0,1] op_sel_hi:[1,0,0] neg_lo:[0,0,1] neg_hi:[0,0,1]
	v_pk_add_f32 v[72:73], v[62:63], v[74:75]
	v_pk_add_f32 v[74:75], v[82:83], v[124:125] neg_lo:[0,1] neg_hi:[0,1]
	v_mov_b32_e32 v90, v162
	v_mov_b32_e32 v91, v89
	v_pk_mul_f32 v[86:87], v[86:87], s[24:25] op_sel_hi:[1,0]
	v_mov_b32_e32 v85, v75
	v_pk_add_f32 v[74:75], v[92:93], v[126:127] neg_lo:[0,1] neg_hi:[0,1]
	v_pk_add_f32 v[90:91], v[90:91], v[156:157]
	v_pk_fma_f32 v[156:157], v[80:81], s[14:15], v[86:87] op_sel:[0,0,1] op_sel_hi:[1,0,0]
	v_pk_fma_f32 v[80:81], v[80:81], s[14:15], v[86:87] op_sel:[0,0,1] op_sel_hi:[1,0,0] neg_lo:[0,0,1] neg_hi:[0,0,1]
	v_pk_add_f32 v[72:73], v[84:85], v[72:73]
	v_mov_b32_e32 v95, v75
	v_mov_b32_e32 v86, v156
	v_mov_b32_e32 v87, v81
	v_pk_mul_f32 v[78:79], v[78:79], s[34:35] op_sel_hi:[1,0]
	v_pk_add_f32 v[72:73], v[94:95], v[72:73]
	v_mov_b32_e32 v105, v103
	v_pk_add_f32 v[86:87], v[86:87], v[90:91]
	v_pk_fma_f32 v[90:91], v[76:77], s[16:17], v[78:79] op_sel:[0,0,1] op_sel_hi:[1,0,0]
	v_pk_fma_f32 v[76:77], v[76:77], s[16:17], v[78:79] op_sel:[0,0,1] op_sel_hi:[1,0,0] neg_lo:[0,0,1] neg_hi:[0,0,1]
	v_pk_add_f32 v[72:73], v[104:105], v[72:73]
	v_mov_b32_e32 v109, v107
	v_mov_b32_e32 v78, v90
	;; [unrolled: 1-line block ×3, first 2 shown]
	v_pk_add_f32 v[72:73], v[108:109], v[72:73]
	v_mov_b32_e32 v113, v111
	v_pk_add_f32 v[78:79], v[78:79], v[86:87]
	v_pk_add_f32 v[72:73], v[112:113], v[72:73]
	ds_write2_b64 v102, v[130:131], v[78:79] offset0:2 offset1:3
	ds_write2_b64 v102, v[72:73], v[64:65] offset0:4 offset1:5
	;; [unrolled: 1-line block ×4, first 2 shown]
	v_pk_fma_f32 v[72:73], v[66:67], s[12:13], v[100:101] neg_lo:[0,0,1] neg_hi:[0,0,1]
	v_pk_fma_f32 v[28:29], v[66:67], s[14:15], v[28:29] neg_lo:[0,0,1] neg_hi:[0,0,1]
	v_mov_b32_e32 v73, v155
	v_pk_fma_f32 v[74:75], v[68:69], s[22:23], v[98:99] neg_lo:[0,0,1] neg_hi:[0,0,1]
	v_mov_b32_e32 v29, v35
	v_pk_fma_f32 v[34:35], v[68:69], s[10:11], v[132:133] neg_lo:[0,0,1] neg_hi:[0,0,1]
	v_pk_add_f32 v[72:73], v[62:63], v[72:73]
	v_mov_b32_e32 v75, v159
	v_pk_add_f32 v[28:29], v[62:63], v[28:29]
	v_mov_b32_e32 v35, v135
	v_pk_add_f32 v[72:73], v[74:75], v[72:73]
	v_pk_fma_f32 v[74:75], v[70:71], s[26:27], v[96:97] neg_lo:[0,0,1] neg_hi:[0,0,1]
	v_pk_add_f32 v[28:29], v[34:35], v[28:29]
	v_pk_fma_f32 v[34:35], v[70:71], s[22:23], v[136:137] neg_lo:[0,0,1] neg_hi:[0,0,1]
	v_mov_b32_e32 v75, v161
	v_mov_b32_e32 v35, v139
	v_pk_add_f32 v[72:73], v[74:75], v[72:73]
	v_mov_b32_e32 v89, v163
	v_pk_add_f32 v[28:29], v[34:35], v[28:29]
	;; [unrolled: 2-line block ×7, first 2 shown]
	v_pk_add_f32 v[28:29], v[150:151], v[28:29]
	ds_write2_b64 v102, v[72:73], v[28:29] offset0:10 offset1:11
	v_pk_fma_f32 v[28:29], v[66:67], s[36:37], v[30:31] neg_lo:[0,0,1] neg_hi:[0,0,1]
	v_pk_fma_f32 v[30:31], v[68:69], s[14:15], v[36:37] neg_lo:[0,0,1] neg_hi:[0,0,1]
	v_mov_b32_e32 v29, v33
	v_pk_add_f32 v[28:29], v[62:63], v[28:29]
	v_mov_b32_e32 v31, v39
	v_pk_add_f32 v[28:29], v[30:31], v[28:29]
	v_pk_fma_f32 v[30:31], v[70:71], s[12:13], v[40:41] neg_lo:[0,0,1] neg_hi:[0,0,1]
	v_mov_b32_e32 v45, v47
	v_mov_b32_e32 v31, v43
	v_pk_add_f32 v[28:29], v[30:31], v[28:29]
	v_mov_b32_e32 v53, v55
	v_pk_add_f32 v[28:29], v[44:45], v[28:29]
	v_mov_b32_e32 v123, v129
	v_pk_add_f32 v[28:29], v[52:53], v[28:29]
	s_nop 0
	v_pk_add_f32 v[28:29], v[122:123], v[28:29]
	ds_write_b64 v102, v[28:29] offset:96
.LBB0_17:
	s_or_b64 exec, exec, s[30:31]
	v_mov_b32_e32 v36, v8
	v_mov_b32_e32 v37, v8
	v_add_u32_e32 v8, 0x400, v114
	s_waitcnt lgkmcnt(0)
	s_barrier
	ds_read2_b64 v[28:31], v114 offset1:91
	ds_read2_b64 v[32:35], v8 offset0:54 offset1:145
	ds_read_b64 v[42:43], v114 offset:2912
	v_mov_b32_e32 v40, v12
	v_mov_b32_e32 v41, v12
	;; [unrolled: 1-line block ×10, first 2 shown]
	s_and_saveexec_b64 s[10:11], s[0:1]
	s_cbranch_execz .LBB0_19
; %bb.18:
	v_add_u32_e32 v46, 0x800, v114
	ds_read_b64 v[64:65], v114 offset:520
	ds_read2_b64 v[56:59], v114 offset0:156 offset1:247
	ds_read2_b64 v[48:51], v46 offset0:82 offset1:173
.LBB0_19:
	s_or_b64 exec, exec, s[10:11]
	s_waitcnt lgkmcnt(2)
	v_pk_mul_f32 v[12:13], v[12:13], v[30:31]
	s_waitcnt lgkmcnt(1)
	v_pk_mul_f32 v[14:15], v[14:15], v[32:33]
	v_pk_fma_f32 v[46:47], v[40:41], v[30:31], v[12:13] op_sel:[0,0,1] op_sel_hi:[1,1,0]
	v_pk_fma_f32 v[12:13], v[40:41], v[30:31], v[12:13] op_sel:[0,0,1] op_sel_hi:[1,1,0] neg_lo:[0,0,1] neg_hi:[0,0,1]
	v_pk_mul_f32 v[8:9], v[8:9], v[34:35]
	v_mov_b32_e32 v47, v13
	v_pk_fma_f32 v[12:13], v[38:39], v[32:33], v[14:15] op_sel:[0,0,1] op_sel_hi:[1,1,0]
	v_pk_fma_f32 v[14:15], v[38:39], v[32:33], v[14:15] op_sel:[0,0,1] op_sel_hi:[1,1,0] neg_lo:[0,0,1] neg_hi:[0,0,1]
	s_waitcnt lgkmcnt(0)
	v_pk_mul_f32 v[10:11], v[10:11], v[42:43]
	v_mov_b32_e32 v13, v15
	v_pk_fma_f32 v[14:15], v[36:37], v[34:35], v[8:9] op_sel:[0,0,1] op_sel_hi:[1,1,0]
	v_pk_fma_f32 v[8:9], v[36:37], v[34:35], v[8:9] op_sel:[0,0,1] op_sel_hi:[1,1,0] neg_lo:[0,0,1] neg_hi:[0,0,1]
	s_mov_b32 s12, 0x3f737871
	v_mov_b32_e32 v15, v9
	v_pk_fma_f32 v[8:9], v[44:45], v[42:43], v[10:11] op_sel:[0,0,1] op_sel_hi:[1,1,0]
	v_pk_fma_f32 v[10:11], v[44:45], v[42:43], v[10:11] op_sel:[0,0,1] op_sel_hi:[1,1,0] neg_lo:[0,0,1] neg_hi:[0,0,1]
	v_pk_add_f32 v[30:31], v[12:13], v[14:15]
	v_mov_b32_e32 v9, v11
	v_pk_add_f32 v[32:33], v[46:47], v[8:9] neg_lo:[0,1] neg_hi:[0,1]
	v_pk_fma_f32 v[30:31], v[30:31], 0.5, v[28:29] op_sel_hi:[1,0,1] neg_lo:[1,0,0] neg_hi:[1,0,0]
	v_pk_mul_f32 v[34:35], v[32:33], s[12:13] op_sel_hi:[1,0]
	v_pk_add_f32 v[36:37], v[12:13], v[14:15] neg_lo:[0,1] neg_hi:[0,1]
	s_mov_b32 s14, 0x3f167918
	v_pk_add_f32 v[40:41], v[46:47], v[12:13] neg_lo:[0,1] neg_hi:[0,1]
	v_pk_add_f32 v[42:43], v[8:9], v[14:15] neg_lo:[0,1] neg_hi:[0,1]
	v_pk_add_f32 v[10:11], v[28:29], v[46:47]
	v_pk_mul_f32 v[38:39], v[36:37], s[14:15] op_sel_hi:[1,0]
	v_pk_add_f32 v[40:41], v[40:41], v[42:43]
	v_pk_add_f32 v[42:43], v[30:31], v[34:35] op_sel:[0,1] op_sel_hi:[1,0] neg_lo:[0,1] neg_hi:[0,1]
	v_pk_add_f32 v[30:31], v[30:31], v[34:35] op_sel:[0,1] op_sel_hi:[1,0]
	v_pk_add_f32 v[10:11], v[10:11], v[12:13]
	v_pk_add_f32 v[30:31], v[30:31], v[38:39] op_sel:[0,1] op_sel_hi:[1,0]
	v_pk_add_f32 v[34:35], v[42:43], v[38:39] op_sel:[0,1] op_sel_hi:[1,0] neg_lo:[0,1] neg_hi:[0,1]
	v_pk_add_f32 v[10:11], v[10:11], v[14:15]
	s_mov_b32 s10, 0x3e9e377a
	v_mov_b32_e32 v38, v34
	v_mov_b32_e32 v39, v31
	v_pk_add_f32 v[10:11], v[10:11], v[8:9]
	v_pk_fma_f32 v[38:39], v[40:41], s[10:11], v[38:39] op_sel_hi:[1,0,1]
	s_barrier
	ds_write2_b64 v118, v[10:11], v[38:39] offset1:13
	v_pk_add_f32 v[10:11], v[46:47], v[8:9]
	v_pk_add_f32 v[12:13], v[12:13], v[46:47] neg_lo:[0,1] neg_hi:[0,1]
	v_pk_add_f32 v[8:9], v[14:15], v[8:9] neg_lo:[0,1] neg_hi:[0,1]
	v_pk_fma_f32 v[10:11], v[10:11], 0.5, v[28:29] op_sel_hi:[1,0,1] neg_lo:[1,0,0] neg_hi:[1,0,0]
	v_pk_add_f32 v[8:9], v[12:13], v[8:9]
	v_pk_mul_f32 v[12:13], v[36:37], s[12:13] op_sel_hi:[1,0]
	v_pk_mul_f32 v[14:15], v[32:33], s[14:15] op_sel_hi:[1,0]
	v_pk_add_f32 v[28:29], v[10:11], v[12:13] op_sel:[0,1] op_sel_hi:[1,0]
	v_pk_add_f32 v[10:11], v[10:11], v[12:13] op_sel:[0,1] op_sel_hi:[1,0] neg_lo:[0,1] neg_hi:[0,1]
	v_pk_add_f32 v[12:13], v[28:29], v[14:15] op_sel:[0,1] op_sel_hi:[1,0] neg_lo:[0,1] neg_hi:[0,1]
	v_pk_add_f32 v[10:11], v[10:11], v[14:15] op_sel:[0,1] op_sel_hi:[1,0]
	v_mov_b32_e32 v14, v12
	v_mov_b32_e32 v15, v11
	v_mov_b32_e32 v11, v13
	v_pk_fma_f32 v[14:15], v[8:9], s[10:11], v[14:15] op_sel_hi:[1,0,1]
	v_pk_fma_f32 v[8:9], v[8:9], s[10:11], v[10:11] op_sel_hi:[1,0,1]
	v_mov_b32_e32 v31, v35
	ds_write2_b64 v118, v[14:15], v[8:9] offset0:26 offset1:39
	v_pk_fma_f32 v[8:9], v[40:41], s[10:11], v[30:31] op_sel_hi:[1,0,1]
	ds_write_b64 v118, v[8:9] offset:416
	s_and_saveexec_b64 s[16:17], s[0:1]
	s_cbranch_execz .LBB0_21
; %bb.20:
	v_mul_u32_u24_e32 v28, 0x41, v116
	v_pk_mul_f32 v[10:11], v[6:7], v[58:59] op_sel:[0,1]
	v_add_u32_sdwa v28, v28, v117 dst_sel:DWORD dst_unused:UNUSED_PAD src0_sel:DWORD src1_sel:BYTE_0
	v_pk_mul_f32 v[8:9], v[4:5], v[56:57] op_sel:[0,1]
	v_lshl_add_u32 v34, v28, 3, v141
	v_pk_fma_f32 v[28:29], v[6:7], v[58:59], v[10:11] op_sel:[0,0,1] op_sel_hi:[1,1,0]
	v_pk_fma_f32 v[6:7], v[6:7], v[58:59], v[10:11] op_sel:[0,0,1] op_sel_hi:[1,0,0] neg_lo:[1,0,0] neg_hi:[1,0,0]
	v_pk_mul_f32 v[14:15], v[0:1], v[48:49] op_sel:[0,1]
	v_mov_b32_e32 v29, v7
	v_pk_fma_f32 v[6:7], v[4:5], v[56:57], v[8:9] op_sel:[0,0,1] op_sel_hi:[1,1,0]
	v_pk_fma_f32 v[4:5], v[4:5], v[56:57], v[8:9] op_sel:[0,0,1] op_sel_hi:[1,0,0] neg_lo:[1,0,0] neg_hi:[1,0,0]
	v_pk_mul_f32 v[12:13], v[2:3], v[50:51] op_sel:[0,1]
	v_mov_b32_e32 v7, v5
	v_pk_fma_f32 v[4:5], v[0:1], v[48:49], v[14:15] op_sel:[0,0,1] op_sel_hi:[1,1,0]
	v_pk_fma_f32 v[0:1], v[0:1], v[48:49], v[14:15] op_sel:[0,0,1] op_sel_hi:[1,0,0] neg_lo:[1,0,0] neg_hi:[1,0,0]
	v_pk_add_f32 v[8:9], v[6:7], v[28:29] neg_lo:[0,1] neg_hi:[0,1]
	v_mov_b32_e32 v5, v1
	v_pk_fma_f32 v[0:1], v[2:3], v[50:51], v[12:13] op_sel:[0,0,1] op_sel_hi:[1,1,0]
	v_pk_fma_f32 v[2:3], v[2:3], v[50:51], v[12:13] op_sel:[0,0,1] op_sel_hi:[1,0,0] neg_lo:[1,0,0] neg_hi:[1,0,0]
	s_nop 0
	v_mov_b32_e32 v1, v3
	v_pk_add_f32 v[10:11], v[0:1], v[4:5] neg_lo:[0,1] neg_hi:[0,1]
	v_pk_add_f32 v[12:13], v[6:7], v[0:1] neg_lo:[0,1] neg_hi:[0,1]
	v_pk_add_f32 v[8:9], v[10:11], v[8:9]
	v_pk_add_f32 v[10:11], v[28:29], v[4:5]
	v_pk_mul_f32 v[14:15], v[12:13], s[12:13] op_sel_hi:[1,0]
	v_pk_fma_f32 v[10:11], v[10:11], 0.5, v[64:65] op_sel_hi:[1,0,1] neg_lo:[1,0,0] neg_hi:[1,0,0]
	v_pk_add_f32 v[2:3], v[64:65], v[6:7]
	v_pk_add_f32 v[30:31], v[10:11], v[14:15] op_sel:[0,1] op_sel_hi:[1,0] neg_lo:[0,1] neg_hi:[0,1]
	v_pk_add_f32 v[10:11], v[10:11], v[14:15] op_sel:[0,1] op_sel_hi:[1,0]
	v_pk_add_f32 v[14:15], v[28:29], v[4:5] neg_lo:[0,1] neg_hi:[0,1]
	v_pk_add_f32 v[2:3], v[28:29], v[2:3]
	v_pk_mul_f32 v[32:33], v[14:15], s[14:15] op_sel_hi:[1,0]
	v_pk_add_f32 v[2:3], v[4:5], v[2:3]
	v_pk_add_f32 v[10:11], v[10:11], v[32:33] op_sel:[0,1] op_sel_hi:[1,0]
	v_pk_add_f32 v[30:31], v[30:31], v[32:33] op_sel:[0,1] op_sel_hi:[1,0] neg_lo:[0,1] neg_hi:[0,1]
	v_mov_b32_e32 v33, v11
	v_mov_b32_e32 v32, v30
	v_pk_add_f32 v[2:3], v[0:1], v[2:3]
	v_pk_fma_f32 v[32:33], v[8:9], s[10:11], v[32:33] op_sel_hi:[1,0,1]
	ds_write2_b64 v34, v[2:3], v[32:33] offset1:13
	v_pk_add_f32 v[2:3], v[28:29], v[6:7] neg_lo:[0,1] neg_hi:[0,1]
	v_pk_add_f32 v[4:5], v[4:5], v[0:1] neg_lo:[0,1] neg_hi:[0,1]
	v_pk_add_f32 v[0:1], v[0:1], v[6:7]
	v_pk_add_f32 v[2:3], v[4:5], v[2:3]
	v_pk_fma_f32 v[0:1], v[0:1], 0.5, v[64:65] op_sel_hi:[1,0,1] neg_lo:[1,0,0] neg_hi:[1,0,0]
	v_pk_mul_f32 v[4:5], v[14:15], s[12:13] op_sel_hi:[1,0]
	v_pk_mul_f32 v[6:7], v[12:13], s[14:15] op_sel_hi:[1,0]
	v_pk_add_f32 v[12:13], v[0:1], v[4:5] op_sel:[0,1] op_sel_hi:[1,0]
	v_pk_add_f32 v[0:1], v[0:1], v[4:5] op_sel:[0,1] op_sel_hi:[1,0] neg_lo:[0,1] neg_hi:[0,1]
	v_pk_add_f32 v[4:5], v[12:13], v[6:7] op_sel:[0,1] op_sel_hi:[1,0] neg_lo:[0,1] neg_hi:[0,1]
	v_pk_add_f32 v[0:1], v[0:1], v[6:7] op_sel:[0,1] op_sel_hi:[1,0]
	v_mov_b32_e32 v6, v4
	v_mov_b32_e32 v7, v1
	;; [unrolled: 1-line block ×3, first 2 shown]
	v_pk_fma_f32 v[6:7], v[2:3], s[10:11], v[6:7] op_sel_hi:[1,0,1]
	v_pk_fma_f32 v[0:1], v[2:3], s[10:11], v[0:1] op_sel_hi:[1,0,1]
	v_mov_b32_e32 v11, v31
	ds_write2_b64 v34, v[6:7], v[0:1] offset0:26 offset1:39
	v_pk_fma_f32 v[0:1], v[8:9], s[10:11], v[10:11] op_sel_hi:[1,0,1]
	ds_write_b64 v34, v[0:1] offset:416
.LBB0_21:
	s_or_b64 exec, exec, s[16:17]
	v_add_u32_e32 v0, 0x400, v114
	s_waitcnt lgkmcnt(0)
	s_barrier
	ds_read2_b64 v[0:3], v0 offset0:67 offset1:132
	ds_read2_b64 v[4:7], v114 offset0:65 offset1:130
	v_add_u32_e32 v8, 0x800, v114
	ds_read2_b64 v[8:11], v8 offset0:69 offset1:134
	v_mov_b32_e32 v14, v25
	s_waitcnt lgkmcnt(2)
	v_pk_mul_f32 v[28:29], v[24:25], v[0:1] op_sel:[0,1] op_sel_hi:[1,0]
	v_pk_mul_f32 v[30:31], v[26:27], v[2:3] op_sel:[0,1] op_sel_hi:[1,0]
	v_mov_b32_e32 v28, v29
	v_pk_mul_f32 v[12:13], v[24:25], v[0:1]
	v_pk_mul_f32 v[14:15], v[14:15], v[0:1] op_sel:[0,1] op_sel_hi:[1,0]
	v_pk_fma_f32 v[0:1], v[24:25], v[0:1], v[28:29] op_sel:[0,1,0] op_sel_hi:[1,0,1] neg_lo:[0,0,1] neg_hi:[0,0,1]
	v_mov_b32_e32 v28, v27
	v_mov_b32_e32 v30, v31
	s_waitcnt lgkmcnt(1)
	v_pk_mul_f32 v[32:33], v[20:21], v[4:5] op_sel_hi:[1,0]
	v_pk_mul_f32 v[24:25], v[26:27], v[2:3]
	v_pk_mul_f32 v[28:29], v[28:29], v[2:3] op_sel:[0,1] op_sel_hi:[1,0]
	v_pk_fma_f32 v[2:3], v[26:27], v[2:3], v[30:31] op_sel:[0,1,0] op_sel_hi:[1,0,1] neg_lo:[0,0,1] neg_hi:[0,0,1]
	v_mov_b32_e32 v30, v5
	v_pk_fma_f32 v[4:5], v[20:21], v[4:5], v[32:33] op_sel:[0,1,1] op_sel_hi:[1,1,0]
	v_pk_fma_f32 v[30:31], v[20:21], v[30:31], v[32:33] op_sel:[0,0,1] op_sel_hi:[1,1,0] neg_lo:[0,0,1] neg_hi:[0,0,1]
	v_mov_b32_e32 v4, v7
	v_pk_mul_f32 v[20:21], v[22:23], v[6:7] op_sel_hi:[1,0]
	v_mov_b32_e32 v31, v5
	v_pk_fma_f32 v[4:5], v[22:23], v[4:5], v[20:21] op_sel:[0,0,1] op_sel_hi:[1,1,0] neg_lo:[0,0,1] neg_hi:[0,0,1]
	v_pk_fma_f32 v[6:7], v[22:23], v[6:7], v[20:21] op_sel:[0,1,1] op_sel_hi:[1,1,0]
	s_waitcnt lgkmcnt(0)
	v_pk_mul_f32 v[20:21], v[16:17], v[8:9] op_sel_hi:[1,0]
	v_mov_b32_e32 v6, v9
	v_pk_fma_f32 v[8:9], v[16:17], v[8:9], v[20:21] op_sel:[0,1,1] op_sel_hi:[1,1,0]
	v_mov_b32_e32 v5, v7
	v_pk_fma_f32 v[6:7], v[16:17], v[6:7], v[20:21] op_sel:[0,0,1] op_sel_hi:[1,1,0] neg_lo:[0,0,1] neg_hi:[0,0,1]
	v_mov_b32_e32 v8, v11
	v_pk_mul_f32 v[16:17], v[18:19], v[10:11] op_sel_hi:[1,0]
	v_mov_b32_e32 v7, v9
	v_pk_fma_f32 v[8:9], v[18:19], v[8:9], v[16:17] op_sel:[0,0,1] op_sel_hi:[1,1,0] neg_lo:[0,0,1] neg_hi:[0,0,1]
	v_pk_fma_f32 v[10:11], v[18:19], v[10:11], v[16:17] op_sel:[0,1,1] op_sel_hi:[1,1,0]
	v_mov_b32_e32 v25, v30
	v_mov_b32_e32 v9, v11
	;; [unrolled: 1-line block ×5, first 2 shown]
	v_pk_add_f32 v[10:11], v[30:31], v[8:9]
	v_pk_add_f32 v[16:17], v[30:31], v[8:9] neg_lo:[0,1] neg_hi:[0,1]
	v_pk_add_f32 v[18:19], v[4:5], v[6:7]
	v_pk_add_f32 v[20:21], v[4:5], v[6:7] neg_lo:[0,1] neg_hi:[0,1]
	v_pk_add_f32 v[8:9], v[24:25], v[28:29]
	v_pk_add_f32 v[4:5], v[12:13], v[14:15]
	ds_read_b64 v[26:27], v114
	v_mov_b32_e32 v3, v8
	v_mov_b32_e32 v1, v4
	v_pk_add_f32 v[6:7], v[2:3], v[0:1] neg_lo:[0,1] neg_hi:[0,1]
	v_mov_b32_e32 v24, v19
	v_mov_b32_e32 v25, v0
	;; [unrolled: 1-line block ×8, first 2 shown]
	s_mov_b32 s0, 0x3f08b237
	v_pk_add_f32 v[0:1], v[24:25], v[0:1]
	v_pk_add_f32 v[2:3], v[4:5], v[8:9]
	s_mov_b32 s14, 0x3d64c772
	v_pk_add_f32 v[12:13], v[12:13], v[14:15] neg_lo:[0,1] neg_hi:[0,1]
	s_mov_b32 s1, 0xbeae86e6
	v_mov_b32_e32 v14, v16
	v_mov_b32_e32 v22, v6
	;; [unrolled: 1-line block ×8, first 2 shown]
	s_mov_b32 s15, 0x3f4a47b2
	v_pk_add_f32 v[14:15], v[14:15], v[22:23] neg_lo:[0,1] neg_hi:[0,1]
	s_mov_b32 s10, s1
	s_mov_b32 s11, s0
	v_pk_add_f32 v[24:25], v[8:9], v[24:25] neg_lo:[0,1] neg_hi:[0,1]
	v_pk_add_f32 v[28:29], v[28:29], v[4:5] neg_lo:[0,1] neg_hi:[0,1]
	v_pk_add_f32 v[0:1], v[0:1], v[2:3]
	s_mov_b32 s16, s15
	s_mov_b32 s17, s14
	v_pk_mul_f32 v[12:13], v[12:13], s[0:1]
	v_pk_mul_f32 v[22:23], v[14:15], s[10:11]
	v_pk_add_f32 v[6:7], v[6:7], v[20:21]
	s_waitcnt lgkmcnt(0)
	v_pk_add_f32 v[2:3], v[26:27], v[0:1]
	s_mov_b32 s12, 0xbf955555
	v_pk_mul_f32 v[24:25], v[24:25], s[14:15]
	v_pk_mul_f32 v[26:27], v[28:29], s[16:17]
	v_mov_b32_e32 v4, v19
	v_mov_b32_e32 v8, v11
	v_pk_add_f32 v[6:7], v[6:7], v[16:17]
	v_pk_fma_f32 v[0:1], v[0:1], s[12:13], v[2:3] op_sel_hi:[1,0,1]
	v_pk_fma_f32 v[14:15], v[14:15], s[10:11], v[12:13]
	v_pk_add_f32 v[16:17], v[20:21], v[16:17] neg_lo:[0,1] neg_hi:[0,1]
	s_mov_b32 s10, 0xbf5ff5aa
	v_pk_add_f32 v[4:5], v[4:5], v[8:9] neg_lo:[0,1] neg_hi:[0,1]
	s_mov_b32 s12, 0x3f3bfb3b
	v_mov_b32_e32 v8, v26
	v_mov_b32_e32 v9, v25
	;; [unrolled: 1-line block ×4, first 2 shown]
	s_mov_b32 s0, 0xbee1c552
	v_pk_fma_f32 v[28:29], v[28:29], s[16:17], v[24:25]
	v_pk_fma_f32 v[8:9], v[4:5], s[12:13], v[8:9] op_sel_hi:[1,0,1] neg_lo:[1,0,1] neg_hi:[1,0,1]
	v_pk_fma_f32 v[10:11], v[16:17], s[10:11], v[10:11] op_sel_hi:[1,0,1] neg_lo:[1,0,1] neg_hi:[1,0,1]
	v_pk_add_f32 v[28:29], v[28:29], v[0:1]
	v_pk_fma_f32 v[14:15], v[6:7], s[0:1], v[14:15] op_sel_hi:[1,0,1]
	v_pk_add_f32 v[8:9], v[8:9], v[0:1]
	v_pk_fma_f32 v[10:11], v[6:7], s[0:1], v[10:11] op_sel_hi:[1,0,1]
	v_pk_add_f32 v[30:31], v[28:29], v[14:15]
	v_pk_add_f32 v[14:15], v[28:29], v[14:15] neg_lo:[0,1] neg_hi:[0,1]
	v_pk_add_f32 v[18:19], v[8:9], v[10:11]
	v_pk_add_f32 v[8:9], v[8:9], v[10:11] neg_lo:[0,1] neg_hi:[0,1]
	ds_write_b64 v115, v[2:3]
	v_mov_b32_e32 v2, v30
	v_mov_b32_e32 v3, v15
	;; [unrolled: 1-line block ×6, first 2 shown]
	ds_write2_b64 v115, v[2:3], v[10:11] offset0:65 offset1:130
	v_pk_fma_f32 v[2:3], v[4:5], s[12:13], v[24:25] op_sel_hi:[1,0,1] neg_lo:[0,0,1] neg_hi:[0,0,1]
	v_pk_fma_f32 v[4:5], v[16:17], s[10:11], v[12:13] op_sel_hi:[1,0,1] neg_lo:[0,0,1] neg_hi:[0,0,1]
	v_pk_add_f32 v[0:1], v[2:3], v[0:1]
	v_pk_fma_f32 v[2:3], v[6:7], s[0:1], v[4:5] op_sel_hi:[1,0,1]
	v_mov_b32_e32 v9, v19
	v_pk_add_f32 v[4:5], v[0:1], v[2:3] neg_lo:[0,1] neg_hi:[0,1]
	v_pk_add_f32 v[2:3], v[0:1], v[2:3]
	v_mov_b32_e32 v6, v4
	v_mov_b32_e32 v7, v3
	;; [unrolled: 1-line block ×3, first 2 shown]
	v_add_u32_e32 v1, 0x400, v115
	v_mov_b32_e32 v15, v31
	v_add_u32_e32 v0, 0x800, v115
	ds_write2_b64 v1, v[6:7], v[2:3] offset0:67 offset1:132
	ds_write2_b64 v0, v[8:9], v[14:15] offset0:69 offset1:134
	s_waitcnt lgkmcnt(0)
	s_barrier
	s_and_b64 exec, exec, vcc
	s_cbranch_execz .LBB0_23
; %bb.22:
	global_load_dwordx2 v[10:11], v61, s[2:3]
	global_load_dwordx2 v[12:13], v61, s[2:3] offset:280
	global_load_dwordx2 v[14:15], v61, s[2:3] offset:560
	global_load_dwordx2 v[16:17], v61, s[2:3] offset:840
	global_load_dwordx2 v[20:21], v61, s[2:3] offset:1120
	ds_read_b64 v[24:25], v115
	ds_read2_b64 v[2:5], v115 offset0:35 offset1:70
	ds_read2_b64 v[6:9], v115 offset0:105 offset1:140
	global_load_dwordx2 v[28:29], v61, s[2:3] offset:1400
	global_load_dwordx2 v[30:31], v61, s[2:3] offset:1680
	;; [unrolled: 1-line block ×3, first 2 shown]
	v_mov_b32_e32 v18, s8
	v_mov_b32_e32 v19, s9
	v_mad_u64_u32 v[26:27], s[8:9], s4, v140, 0
	v_mov_b32_e32 v36, v27
	v_mad_u64_u32 v[36:37], s[8:9], s5, v140, v[36:37]
	;; [unrolled: 2-line block ×4, first 2 shown]
	v_mov_b32_e32 v23, v34
	v_lshl_add_u64 v[18:19], v[22:23], 3, v[18:19]
	v_mov_b32_e32 v38, 0x118
	v_lshl_add_u64 v[18:19], v[26:27], 3, v[18:19]
	s_mul_i32 s6, s5, 0x118
	v_mad_u64_u32 v[22:23], s[8:9], s4, v38, v[18:19]
	s_mov_b32 s0, 0x12012012
	v_add_u32_e32 v23, s6, v23
	s_mov_b32 s1, 0x3f620120
	v_mad_u64_u32 v[26:27], s[8:9], s4, v38, v[22:23]
	v_add_u32_e32 v27, s6, v27
	v_mad_u64_u32 v[34:35], s[8:9], s4, v38, v[26:27]
	v_add_u32_e32 v35, s6, v35
	s_waitcnt vmcnt(7) lgkmcnt(2)
	v_mul_f32_e32 v36, v25, v11
	s_waitcnt vmcnt(6) lgkmcnt(1)
	v_mul_f32_e32 v37, v3, v13
	v_mul_f32_e32 v11, v24, v11
	;; [unrolled: 1-line block ×3, first 2 shown]
	s_waitcnt vmcnt(4) lgkmcnt(0)
	v_mul_f32_e32 v40, v7, v17
	v_mul_f32_e32 v17, v6, v17
	v_fmac_f32_e32 v36, v24, v10
	v_fmac_f32_e32 v37, v2, v12
	v_fma_f32 v10, v10, v25, -v11
	v_fma_f32 v11, v12, v3, -v13
	v_fmac_f32_e32 v40, v6, v16
	v_fma_f32 v24, v16, v7, -v17
	v_cvt_f64_f32_e32 v[2:3], v36
	v_cvt_f64_f32_e32 v[6:7], v37
	global_load_dwordx2 v[36:37], v61, s[2:3] offset:2240
	v_mul_f32_e32 v39, v5, v15
	v_mul_f32_e32 v15, v4, v15
	v_fmac_f32_e32 v39, v4, v14
	v_fma_f32 v14, v14, v5, -v15
	v_cvt_f64_f32_e32 v[4:5], v10
	v_cvt_f64_f32_e32 v[10:11], v11
	v_cvt_f64_f32_e32 v[12:13], v39
	v_cvt_f64_f32_e32 v[14:15], v14
	v_cvt_f64_f32_e32 v[16:17], v40
	v_cvt_f64_f32_e32 v[24:25], v24
	v_mul_f64 v[2:3], v[2:3], s[0:1]
	v_mul_f64 v[4:5], v[4:5], s[0:1]
	;; [unrolled: 1-line block ×8, first 2 shown]
	v_cvt_f32_f64_e32 v2, v[2:3]
	v_cvt_f32_f64_e32 v3, v[4:5]
	;; [unrolled: 1-line block ×5, first 2 shown]
	global_load_dwordx2 v[12:13], v61, s[2:3] offset:2520
	v_cvt_f32_f64_e32 v7, v[14:15]
	v_cvt_f32_f64_e32 v10, v[16:17]
	;; [unrolled: 1-line block ×3, first 2 shown]
	global_store_dwordx2 v[18:19], v[2:3], off
	global_store_dwordx2 v[22:23], v[4:5], off
	;; [unrolled: 1-line block ×4, first 2 shown]
	s_waitcnt vmcnt(9)
	v_mul_f32_e32 v2, v9, v21
	v_fmac_f32_e32 v2, v8, v20
	v_cvt_f64_f32_e32 v[2:3], v2
	v_mul_f64 v[2:3], v[2:3], s[0:1]
	v_cvt_f32_f64_e32 v6, v[2:3]
	v_mul_f32_e32 v2, v8, v21
	v_fma_f32 v2, v20, v9, -v2
	global_load_dwordx2 v[8:9], v61, s[2:3] offset:2800
	global_load_dwordx2 v[14:15], v61, s[2:3] offset:3080
	v_cvt_f64_f32_e32 v[2:3], v2
	v_mul_f64 v[2:3], v[2:3], s[0:1]
	v_cvt_f32_f64_e32 v7, v[2:3]
	ds_read2_b64 v[2:5], v115 offset0:175 offset1:210
	v_mad_u64_u32 v[10:11], s[8:9], s4, v38, v[34:35]
	v_add_u32_e32 v11, s6, v11
	global_store_dwordx2 v[10:11], v[6:7], off
	s_waitcnt vmcnt(11) lgkmcnt(0)
	v_mul_f32_e32 v6, v3, v29
	v_fmac_f32_e32 v6, v2, v28
	v_mul_f32_e32 v2, v2, v29
	v_fma_f32 v2, v28, v3, -v2
	v_cvt_f64_f32_e32 v[6:7], v6
	v_cvt_f64_f32_e32 v[2:3], v2
	v_mul_f64 v[6:7], v[6:7], s[0:1]
	v_mul_f64 v[2:3], v[2:3], s[0:1]
	v_cvt_f32_f64_e32 v6, v[6:7]
	v_cvt_f32_f64_e32 v7, v[2:3]
	s_waitcnt vmcnt(10)
	v_mul_f32_e32 v2, v5, v31
	v_fmac_f32_e32 v2, v4, v30
	v_mad_u64_u32 v[10:11], s[8:9], s4, v38, v[10:11]
	v_cvt_f64_f32_e32 v[2:3], v2
	v_add_u32_e32 v11, s6, v11
	v_mul_f64 v[2:3], v[2:3], s[0:1]
	global_store_dwordx2 v[10:11], v[6:7], off
	v_cvt_f32_f64_e32 v6, v[2:3]
	v_mul_f32_e32 v2, v4, v31
	v_fma_f32 v2, v30, v5, -v2
	v_cvt_f64_f32_e32 v[2:3], v2
	v_mul_f64 v[2:3], v[2:3], s[0:1]
	v_cvt_f32_f64_e32 v7, v[2:3]
	ds_read2_b64 v[2:5], v1 offset0:117 offset1:152
	v_mad_u64_u32 v[10:11], s[8:9], s4, v38, v[10:11]
	v_add_u32_e32 v11, s6, v11
	global_store_dwordx2 v[10:11], v[6:7], off
	s_waitcnt vmcnt(11) lgkmcnt(0)
	v_mul_f32_e32 v1, v3, v33
	v_fmac_f32_e32 v1, v2, v32
	v_cvt_f64_f32_e32 v[6:7], v1
	v_mul_f32_e32 v1, v2, v33
	v_fma_f32 v1, v32, v3, -v1
	v_cvt_f64_f32_e32 v[2:3], v1
	s_waitcnt vmcnt(10)
	v_mul_f32_e32 v1, v5, v37
	v_mul_f64 v[6:7], v[6:7], s[0:1]
	v_mul_f64 v[2:3], v[2:3], s[0:1]
	v_fmac_f32_e32 v1, v4, v36
	v_cvt_f32_f64_e32 v6, v[6:7]
	v_cvt_f32_f64_e32 v7, v[2:3]
	v_mad_u64_u32 v[10:11], s[8:9], s4, v38, v[10:11]
	v_cvt_f64_f32_e32 v[2:3], v1
	v_mul_f32_e32 v1, v4, v37
	v_add_u32_e32 v11, s6, v11
	v_mul_f64 v[2:3], v[2:3], s[0:1]
	v_fma_f32 v1, v36, v5, -v1
	global_store_dwordx2 v[10:11], v[6:7], off
	v_cvt_f32_f64_e32 v6, v[2:3]
	v_cvt_f64_f32_e32 v[2:3], v1
	v_mul_f64 v[2:3], v[2:3], s[0:1]
	v_cvt_f32_f64_e32 v7, v[2:3]
	ds_read2_b64 v[2:5], v0 offset0:59 offset1:94
	v_mad_u64_u32 v[10:11], s[8:9], s4, v38, v[10:11]
	v_add_u32_e32 v11, s6, v11
	global_store_dwordx2 v[10:11], v[6:7], off
	s_waitcnt vmcnt(11) lgkmcnt(0)
	v_mul_f32_e32 v1, v3, v13
	v_fmac_f32_e32 v1, v2, v12
	v_cvt_f64_f32_e32 v[6:7], v1
	v_mul_f32_e32 v1, v2, v13
	v_fma_f32 v1, v12, v3, -v1
	v_cvt_f64_f32_e32 v[2:3], v1
	v_mul_f64 v[6:7], v[6:7], s[0:1]
	v_mul_f64 v[2:3], v[2:3], s[0:1]
	v_cvt_f32_f64_e32 v6, v[6:7]
	v_cvt_f32_f64_e32 v7, v[2:3]
	v_mad_u64_u32 v[10:11], s[8:9], s4, v38, v[10:11]
	s_waitcnt vmcnt(6)
	v_mul_f32_e32 v1, v5, v9
	v_fmac_f32_e32 v1, v4, v8
	v_cvt_f64_f32_e32 v[2:3], v1
	v_mul_f32_e32 v1, v4, v9
	v_add_u32_e32 v11, s6, v11
	v_mul_f64 v[2:3], v[2:3], s[0:1]
	v_fma_f32 v1, v8, v5, -v1
	global_store_dwordx2 v[10:11], v[6:7], off
	v_cvt_f32_f64_e32 v6, v[2:3]
	v_cvt_f64_f32_e32 v[2:3], v1
	v_mul_f64 v[2:3], v[2:3], s[0:1]
	v_cvt_f32_f64_e32 v7, v[2:3]
	ds_read2_b64 v[0:3], v0 offset0:129 offset1:164
	v_mad_u64_u32 v[4:5], s[8:9], s4, v38, v[10:11]
	v_add_u32_e32 v5, s6, v5
	global_store_dwordx2 v[4:5], v[6:7], off
	s_waitcnt vmcnt(7) lgkmcnt(0)
	v_mul_f32_e32 v6, v1, v15
	v_fmac_f32_e32 v6, v0, v14
	v_mul_f32_e32 v0, v0, v15
	v_fma_f32 v0, v14, v1, -v0
	v_cvt_f64_f32_e32 v[6:7], v6
	v_cvt_f64_f32_e32 v[0:1], v0
	v_mul_f64 v[6:7], v[6:7], s[0:1]
	v_mul_f64 v[0:1], v[0:1], s[0:1]
	v_cvt_f32_f64_e32 v6, v[6:7]
	v_cvt_f32_f64_e32 v7, v[0:1]
	v_mad_u64_u32 v[0:1], s[8:9], s4, v38, v[4:5]
	v_add_u32_e32 v1, s6, v1
	global_store_dwordx2 v[0:1], v[6:7], off
	global_load_dwordx2 v[4:5], v61, s[2:3] offset:3360
	s_waitcnt vmcnt(0)
	v_mul_f32_e32 v6, v3, v5
	v_fmac_f32_e32 v6, v2, v4
	v_mul_f32_e32 v2, v2, v5
	v_fma_f32 v2, v4, v3, -v2
	v_cvt_f64_f32_e32 v[6:7], v6
	v_cvt_f64_f32_e32 v[2:3], v2
	v_mul_f64 v[6:7], v[6:7], s[0:1]
	v_mul_f64 v[2:3], v[2:3], s[0:1]
	v_mad_u64_u32 v[0:1], s[0:1], s4, v38, v[0:1]
	v_cvt_f32_f64_e32 v6, v[6:7]
	v_cvt_f32_f64_e32 v7, v[2:3]
	v_add_u32_e32 v1, s6, v1
	global_store_dwordx2 v[0:1], v[6:7], off
.LBB0_23:
	s_endpgm
	.section	.rodata,"a",@progbits
	.p2align	6, 0x0
	.amdhsa_kernel bluestein_single_back_len455_dim1_sp_op_CI_CI
		.amdhsa_group_segment_fixed_size 10920
		.amdhsa_private_segment_fixed_size 0
		.amdhsa_kernarg_size 104
		.amdhsa_user_sgpr_count 2
		.amdhsa_user_sgpr_dispatch_ptr 0
		.amdhsa_user_sgpr_queue_ptr 0
		.amdhsa_user_sgpr_kernarg_segment_ptr 1
		.amdhsa_user_sgpr_dispatch_id 0
		.amdhsa_user_sgpr_kernarg_preload_length 0
		.amdhsa_user_sgpr_kernarg_preload_offset 0
		.amdhsa_user_sgpr_private_segment_size 0
		.amdhsa_uses_dynamic_stack 0
		.amdhsa_enable_private_segment 0
		.amdhsa_system_sgpr_workgroup_id_x 1
		.amdhsa_system_sgpr_workgroup_id_y 0
		.amdhsa_system_sgpr_workgroup_id_z 0
		.amdhsa_system_sgpr_workgroup_info 0
		.amdhsa_system_vgpr_workitem_id 0
		.amdhsa_next_free_vgpr 176
		.amdhsa_next_free_sgpr 44
		.amdhsa_accum_offset 176
		.amdhsa_reserve_vcc 1
		.amdhsa_float_round_mode_32 0
		.amdhsa_float_round_mode_16_64 0
		.amdhsa_float_denorm_mode_32 3
		.amdhsa_float_denorm_mode_16_64 3
		.amdhsa_dx10_clamp 1
		.amdhsa_ieee_mode 1
		.amdhsa_fp16_overflow 0
		.amdhsa_tg_split 0
		.amdhsa_exception_fp_ieee_invalid_op 0
		.amdhsa_exception_fp_denorm_src 0
		.amdhsa_exception_fp_ieee_div_zero 0
		.amdhsa_exception_fp_ieee_overflow 0
		.amdhsa_exception_fp_ieee_underflow 0
		.amdhsa_exception_fp_ieee_inexact 0
		.amdhsa_exception_int_div_zero 0
	.end_amdhsa_kernel
	.text
.Lfunc_end0:
	.size	bluestein_single_back_len455_dim1_sp_op_CI_CI, .Lfunc_end0-bluestein_single_back_len455_dim1_sp_op_CI_CI
                                        ; -- End function
	.section	.AMDGPU.csdata,"",@progbits
; Kernel info:
; codeLenInByte = 11944
; NumSgprs: 50
; NumVgprs: 176
; NumAgprs: 0
; TotalNumVgprs: 176
; ScratchSize: 0
; MemoryBound: 0
; FloatMode: 240
; IeeeMode: 1
; LDSByteSize: 10920 bytes/workgroup (compile time only)
; SGPRBlocks: 6
; VGPRBlocks: 21
; NumSGPRsForWavesPerEU: 50
; NumVGPRsForWavesPerEU: 176
; AccumOffset: 176
; Occupancy: 2
; WaveLimiterHint : 1
; COMPUTE_PGM_RSRC2:SCRATCH_EN: 0
; COMPUTE_PGM_RSRC2:USER_SGPR: 2
; COMPUTE_PGM_RSRC2:TRAP_HANDLER: 0
; COMPUTE_PGM_RSRC2:TGID_X_EN: 1
; COMPUTE_PGM_RSRC2:TGID_Y_EN: 0
; COMPUTE_PGM_RSRC2:TGID_Z_EN: 0
; COMPUTE_PGM_RSRC2:TIDIG_COMP_CNT: 0
; COMPUTE_PGM_RSRC3_GFX90A:ACCUM_OFFSET: 43
; COMPUTE_PGM_RSRC3_GFX90A:TG_SPLIT: 0
	.text
	.p2alignl 6, 3212836864
	.fill 256, 4, 3212836864
	.type	__hip_cuid_f808d254b36e214b,@object ; @__hip_cuid_f808d254b36e214b
	.section	.bss,"aw",@nobits
	.globl	__hip_cuid_f808d254b36e214b
__hip_cuid_f808d254b36e214b:
	.byte	0                               ; 0x0
	.size	__hip_cuid_f808d254b36e214b, 1

	.ident	"AMD clang version 19.0.0git (https://github.com/RadeonOpenCompute/llvm-project roc-6.4.0 25133 c7fe45cf4b819c5991fe208aaa96edf142730f1d)"
	.section	".note.GNU-stack","",@progbits
	.addrsig
	.addrsig_sym __hip_cuid_f808d254b36e214b
	.amdgpu_metadata
---
amdhsa.kernels:
  - .agpr_count:     0
    .args:
      - .actual_access:  read_only
        .address_space:  global
        .offset:         0
        .size:           8
        .value_kind:     global_buffer
      - .actual_access:  read_only
        .address_space:  global
        .offset:         8
        .size:           8
        .value_kind:     global_buffer
      - .actual_access:  read_only
        .address_space:  global
        .offset:         16
        .size:           8
        .value_kind:     global_buffer
      - .actual_access:  read_only
        .address_space:  global
        .offset:         24
        .size:           8
        .value_kind:     global_buffer
      - .actual_access:  read_only
        .address_space:  global
        .offset:         32
        .size:           8
        .value_kind:     global_buffer
      - .offset:         40
        .size:           8
        .value_kind:     by_value
      - .address_space:  global
        .offset:         48
        .size:           8
        .value_kind:     global_buffer
      - .address_space:  global
        .offset:         56
        .size:           8
        .value_kind:     global_buffer
      - .address_space:  global
        .offset:         64
        .size:           8
        .value_kind:     global_buffer
      - .address_space:  global
        .offset:         72
        .size:           8
        .value_kind:     global_buffer
      - .offset:         80
        .size:           4
        .value_kind:     by_value
      - .address_space:  global
        .offset:         88
        .size:           8
        .value_kind:     global_buffer
      - .address_space:  global
        .offset:         96
        .size:           8
        .value_kind:     global_buffer
    .group_segment_fixed_size: 10920
    .kernarg_segment_align: 8
    .kernarg_segment_size: 104
    .language:       OpenCL C
    .language_version:
      - 2
      - 0
    .max_flat_workgroup_size: 195
    .name:           bluestein_single_back_len455_dim1_sp_op_CI_CI
    .private_segment_fixed_size: 0
    .sgpr_count:     50
    .sgpr_spill_count: 0
    .symbol:         bluestein_single_back_len455_dim1_sp_op_CI_CI.kd
    .uniform_work_group_size: 1
    .uses_dynamic_stack: false
    .vgpr_count:     176
    .vgpr_spill_count: 0
    .wavefront_size: 64
amdhsa.target:   amdgcn-amd-amdhsa--gfx950
amdhsa.version:
  - 1
  - 2
...

	.end_amdgpu_metadata
